;; amdgpu-corpus repo=ROCm/rocFFT kind=compiled arch=gfx1030 opt=O3
	.text
	.amdgcn_target "amdgcn-amd-amdhsa--gfx1030"
	.amdhsa_code_object_version 6
	.protected	bluestein_single_fwd_len882_dim1_half_op_CI_CI ; -- Begin function bluestein_single_fwd_len882_dim1_half_op_CI_CI
	.globl	bluestein_single_fwd_len882_dim1_half_op_CI_CI
	.p2align	8
	.type	bluestein_single_fwd_len882_dim1_half_op_CI_CI,@function
bluestein_single_fwd_len882_dim1_half_op_CI_CI: ; @bluestein_single_fwd_len882_dim1_half_op_CI_CI
; %bb.0:
	s_load_dwordx4 s[12:15], s[4:5], 0x28
	v_mul_u32_u24_e32 v1, 0x411, v0
	v_mov_b32_e32 v17, 0
	s_mov_b32 s0, exec_lo
	v_lshrrev_b32_e32 v1, 16, v1
	v_add_nc_u32_e32 v16, s6, v1
	s_waitcnt lgkmcnt(0)
	v_cmpx_gt_u64_e64 s[12:13], v[16:17]
	s_cbranch_execz .LBB0_15
; %bb.1:
	s_clause 0x1
	s_load_dwordx4 s[8:11], s[4:5], 0x18
	s_load_dwordx2 s[6:7], s[4:5], 0x0
	v_mul_lo_u16 v1, v1, 63
	v_sub_nc_u16 v7, v0, v1
	v_and_b32_e32 v46, 0xffff, v7
	v_lshlrev_b32_e32 v39, 2, v46
	s_waitcnt lgkmcnt(0)
	s_load_dwordx4 s[0:3], s[8:9], 0x0
	s_waitcnt lgkmcnt(0)
	v_mad_u64_u32 v[0:1], null, s2, v16, 0
	v_mad_u64_u32 v[2:3], null, s0, v46, 0
	s_mul_hi_u32 s8, s0, 0x62
	s_mul_i32 s2, s0, 0x62
	v_mad_u64_u32 v[4:5], null, s3, v16, v[1:2]
	s_mul_i32 s3, s1, 0x62
	s_add_i32 s3, s8, s3
	v_add_co_u32 v14, s8, s6, v39
	s_lshl_b64 s[2:3], s[2:3], 2
	v_mad_u64_u32 v[5:6], null, s1, v46, v[3:4]
	v_mov_b32_e32 v1, v4
	v_add_co_ci_u32_e64 v15, null, s7, 0, s8
	v_lshlrev_b64 v[0:1], 2, v[0:1]
	v_mov_b32_e32 v3, v5
	v_add_co_u32 v0, vcc_lo, s14, v0
	v_lshlrev_b64 v[2:3], 2, v[2:3]
	v_add_co_ci_u32_e32 v1, vcc_lo, s15, v1, vcc_lo
	v_add_co_u32 v0, vcc_lo, v0, v2
	v_add_co_ci_u32_e32 v1, vcc_lo, v1, v3, vcc_lo
	v_add_co_u32 v2, vcc_lo, v0, s2
	v_add_co_ci_u32_e32 v3, vcc_lo, s3, v1, vcc_lo
	s_clause 0x1
	global_load_dword v6, v[0:1], off
	global_load_dword v8, v[2:3], off
	v_add_co_u32 v4, vcc_lo, v2, s2
	v_add_co_ci_u32_e32 v5, vcc_lo, s3, v3, vcc_lo
	v_add_co_u32 v0, vcc_lo, v4, s2
	v_add_co_ci_u32_e32 v1, vcc_lo, s3, v5, vcc_lo
	s_clause 0x5
	global_load_dword v49, v39, s[6:7]
	global_load_dword v48, v39, s[6:7] offset:392
	global_load_dword v47, v39, s[6:7] offset:784
	;; [unrolled: 1-line block ×5, first 2 shown]
	s_clause 0x1
	global_load_dword v4, v[4:5], off
	global_load_dword v5, v[0:1], off
	v_add_co_u32 v0, vcc_lo, v0, s2
	v_add_co_ci_u32_e32 v1, vcc_lo, s3, v1, vcc_lo
	v_add_co_u32 v12, vcc_lo, 0x800, v14
	v_add_co_ci_u32_e32 v13, vcc_lo, 0, v15, vcc_lo
	;; [unrolled: 2-line block ×3, first 2 shown]
	global_load_dword v9, v[0:1], off
	v_add_co_u32 v0, vcc_lo, v2, s2
	v_add_co_ci_u32_e32 v1, vcc_lo, s3, v3, vcc_lo
	global_load_dword v10, v[2:3], off
	v_add_co_u32 v2, vcc_lo, v0, s2
	v_add_co_ci_u32_e32 v3, vcc_lo, s3, v1, vcc_lo
	global_load_dword v11, v[0:1], off
	v_add_co_u32 v0, vcc_lo, v2, s2
	v_add_co_ci_u32_e32 v1, vcc_lo, s3, v3, vcc_lo
	global_load_dword v42, v[12:13], off offset:304
	global_load_dword v3, v[2:3], off
	global_load_dword v17, v[0:1], off
	s_clause 0x1
	global_load_dword v41, v[12:13], off offset:696
	global_load_dword v40, v[12:13], off offset:1088
	s_load_dwordx2 s[6:7], s[4:5], 0x38
	s_load_dwordx4 s[8:11], s[10:11], 0x0
	v_add_nc_u32_e32 v2, 0x200, v39
	v_cmp_gt_u16_e32 vcc_lo, 35, v7
	s_waitcnt vmcnt(17)
	v_lshrrev_b32_e32 v18, 16, v6
	s_waitcnt vmcnt(16)
	v_lshrrev_b32_e32 v21, 16, v8
	s_waitcnt vmcnt(15)
	v_mul_f16_sdwa v19, v49, v6 dst_sel:DWORD dst_unused:UNUSED_PAD src0_sel:WORD_1 src1_sel:DWORD
	v_mul_f16_sdwa v20, v49, v18 dst_sel:DWORD dst_unused:UNUSED_PAD src0_sel:WORD_1 src1_sel:DWORD
	s_waitcnt vmcnt(14)
	v_mul_f16_sdwa v22, v48, v8 dst_sel:DWORD dst_unused:UNUSED_PAD src0_sel:WORD_1 src1_sel:DWORD
	v_fma_f16 v18, v49, v18, -v19
	v_fmac_f16_e32 v20, v49, v6
	v_mul_f16_sdwa v6, v48, v21 dst_sel:DWORD dst_unused:UNUSED_PAD src0_sel:WORD_1 src1_sel:DWORD
	s_waitcnt vmcnt(9)
	v_lshrrev_b32_e32 v19, 16, v4
	v_fma_f16 v21, v48, v21, -v22
	v_mul_f16_sdwa v22, v47, v4 dst_sel:DWORD dst_unused:UNUSED_PAD src0_sel:WORD_1 src1_sel:DWORD
	v_pack_b32_f16 v18, v20, v18
	v_fmac_f16_e32 v6, v48, v8
	v_mul_f16_sdwa v8, v47, v19 dst_sel:DWORD dst_unused:UNUSED_PAD src0_sel:WORD_1 src1_sel:DWORD
	s_waitcnt vmcnt(8)
	v_lshrrev_b32_e32 v20, 16, v5
	v_fma_f16 v19, v47, v19, -v22
	v_mul_f16_sdwa v23, v45, v5 dst_sel:DWORD dst_unused:UNUSED_PAD src0_sel:WORD_1 src1_sel:DWORD
	v_pack_b32_f16 v6, v6, v21
	v_fmac_f16_e32 v8, v47, v4
	v_mul_f16_sdwa v4, v45, v20 dst_sel:DWORD dst_unused:UNUSED_PAD src0_sel:WORD_1 src1_sel:DWORD
	s_waitcnt vmcnt(7)
	v_lshrrev_b32_e32 v21, 16, v9
	v_mul_f16_sdwa v22, v44, v9 dst_sel:DWORD dst_unused:UNUSED_PAD src0_sel:WORD_1 src1_sel:DWORD
	ds_write2_b32 v39, v18, v6 offset1:98
	v_pack_b32_f16 v6, v8, v19
	v_fmac_f16_e32 v4, v45, v5
	v_mul_f16_sdwa v5, v44, v21 dst_sel:DWORD dst_unused:UNUSED_PAD src0_sel:WORD_1 src1_sel:DWORD
	s_waitcnt vmcnt(6)
	v_lshrrev_b32_e32 v8, 16, v10
	v_fma_f16 v20, v45, v20, -v23
	v_fma_f16 v18, v44, v21, -v22
	v_mul_f16_sdwa v19, v43, v10 dst_sel:DWORD dst_unused:UNUSED_PAD src0_sel:WORD_1 src1_sel:DWORD
	v_fmac_f16_e32 v5, v44, v9
	v_mul_f16_sdwa v9, v43, v8 dst_sel:DWORD dst_unused:UNUSED_PAD src0_sel:WORD_1 src1_sel:DWORD
	v_pack_b32_f16 v4, v4, v20
	s_waitcnt vmcnt(5)
	v_lshrrev_b32_e32 v20, 16, v11
	v_fma_f16 v8, v43, v8, -v19
	s_waitcnt vmcnt(4)
	v_mul_f16_sdwa v19, v42, v11 dst_sel:DWORD dst_unused:UNUSED_PAD src0_sel:WORD_1 src1_sel:DWORD
	v_pack_b32_f16 v5, v5, v18
	v_fmac_f16_e32 v9, v43, v10
	s_waitcnt vmcnt(3)
	v_lshrrev_b32_e32 v18, 16, v3
	s_waitcnt vmcnt(2)
	v_lshrrev_b32_e32 v21, 16, v17
	v_mul_f16_sdwa v10, v42, v20 dst_sel:DWORD dst_unused:UNUSED_PAD src0_sel:WORD_1 src1_sel:DWORD
	v_fma_f16 v19, v42, v20, -v19
	s_waitcnt vmcnt(1)
	v_mul_f16_sdwa v20, v41, v3 dst_sel:DWORD dst_unused:UNUSED_PAD src0_sel:WORD_1 src1_sel:DWORD
	v_pack_b32_f16 v8, v9, v8
	v_mul_f16_sdwa v9, v41, v18 dst_sel:DWORD dst_unused:UNUSED_PAD src0_sel:WORD_1 src1_sel:DWORD
	s_waitcnt vmcnt(0)
	v_mul_f16_sdwa v22, v40, v21 dst_sel:DWORD dst_unused:UNUSED_PAD src0_sel:WORD_1 src1_sel:DWORD
	v_mul_f16_sdwa v23, v40, v17 dst_sel:DWORD dst_unused:UNUSED_PAD src0_sel:WORD_1 src1_sel:DWORD
	v_fmac_f16_e32 v10, v42, v11
	v_fma_f16 v11, v41, v18, -v20
	v_fmac_f16_e32 v9, v41, v3
	v_fmac_f16_e32 v22, v40, v17
	v_fma_f16 v17, v40, v21, -v23
	v_add_nc_u32_e32 v3, 0x400, v39
	v_pack_b32_f16 v18, v10, v19
	v_add_nc_u32_e32 v10, 0x800, v39
	v_pack_b32_f16 v9, v9, v11
	v_pack_b32_f16 v11, v22, v17
	ds_write2_b32 v2, v6, v4 offset0:68 offset1:166
	ds_write2_b32 v3, v5, v8 offset0:136 offset1:234
	;; [unrolled: 1-line block ×3, first 2 shown]
	ds_write_b32 v39, v11 offset:3136
	s_and_saveexec_b32 s12, vcc_lo
	s_cbranch_execz .LBB0_3
; %bb.2:
	v_mad_u64_u32 v[0:1], null, 0xfffff4bc, s0, v[0:1]
	s_mulk_i32 s1, 0xf4bc
	s_sub_i32 s0, s1, s0
	v_add_nc_u32_e32 v1, s0, v1
	v_add_co_u32 v4, s0, v0, s2
	v_add_co_ci_u32_e64 v5, s0, s3, v1, s0
	global_load_dword v6, v[0:1], off
	global_load_dword v7, v[4:5], off
	v_add_co_u32 v0, s0, v4, s2
	v_add_co_ci_u32_e64 v1, s0, s3, v5, s0
	s_clause 0x4
	global_load_dword v8, v[14:15], off offset:252
	global_load_dword v9, v[14:15], off offset:644
	;; [unrolled: 1-line block ×5, first 2 shown]
	global_load_dword v19, v[0:1], off
	v_add_co_u32 v0, s0, v0, s2
	v_add_co_ci_u32_e64 v1, s0, s3, v1, s0
	global_load_dword v20, v[12:13], off offset:164
	v_add_co_u32 v4, s0, v0, s2
	v_add_co_ci_u32_e64 v5, s0, s3, v1, s0
	global_load_dword v21, v[0:1], off
	v_add_co_u32 v0, s0, v4, s2
	v_add_co_ci_u32_e64 v1, s0, s3, v5, s0
	global_load_dword v22, v[4:5], off
	;; [unrolled: 3-line block ×4, first 2 shown]
	v_add_co_u32 v4, s0, v0, s2
	v_add_co_ci_u32_e64 v5, s0, s3, v1, s0
	global_load_dword v25, v[12:13], off offset:556
	global_load_dword v0, v[0:1], off
	global_load_dword v1, v[4:5], off
	s_clause 0x1
	global_load_dword v4, v[12:13], off offset:948
	global_load_dword v5, v[12:13], off offset:1340
	s_waitcnt vmcnt(17)
	v_lshrrev_b32_e32 v26, 16, v6
	s_waitcnt vmcnt(15)
	v_mul_f16_sdwa v27, v8, v6 dst_sel:DWORD dst_unused:UNUSED_PAD src0_sel:WORD_1 src1_sel:DWORD
	v_lshrrev_b32_e32 v29, 16, v7
	s_waitcnt vmcnt(14)
	v_mul_f16_sdwa v30, v9, v7 dst_sel:DWORD dst_unused:UNUSED_PAD src0_sel:WORD_1 src1_sel:DWORD
	v_mul_f16_sdwa v28, v8, v26 dst_sel:DWORD dst_unused:UNUSED_PAD src0_sel:WORD_1 src1_sel:DWORD
	v_fma_f16 v26, v8, v26, -v27
	v_fma_f16 v27, v9, v29, -v30
	v_fmac_f16_e32 v28, v8, v6
	v_mul_f16_sdwa v6, v9, v29 dst_sel:DWORD dst_unused:UNUSED_PAD src0_sel:WORD_1 src1_sel:DWORD
	s_waitcnt vmcnt(10)
	v_lshrrev_b32_e32 v8, 16, v19
	v_mul_f16_sdwa v29, v11, v19 dst_sel:DWORD dst_unused:UNUSED_PAD src0_sel:WORD_1 src1_sel:DWORD
	v_pack_b32_f16 v26, v28, v26
	v_fmac_f16_e32 v6, v9, v7
	v_mul_f16_sdwa v7, v11, v8 dst_sel:DWORD dst_unused:UNUSED_PAD src0_sel:WORD_1 src1_sel:DWORD
	s_waitcnt vmcnt(8)
	v_lshrrev_b32_e32 v9, 16, v21
	v_fma_f16 v8, v11, v8, -v29
	v_mul_f16_sdwa v28, v17, v21 dst_sel:DWORD dst_unused:UNUSED_PAD src0_sel:WORD_1 src1_sel:DWORD
	v_pack_b32_f16 v6, v6, v27
	v_fmac_f16_e32 v7, v11, v19
	s_waitcnt vmcnt(7)
	v_lshrrev_b32_e32 v19, 16, v22
	v_mul_f16_sdwa v11, v17, v9 dst_sel:DWORD dst_unused:UNUSED_PAD src0_sel:WORD_1 src1_sel:DWORD
	v_mul_f16_sdwa v27, v18, v22 dst_sel:DWORD dst_unused:UNUSED_PAD src0_sel:WORD_1 src1_sel:DWORD
	v_fma_f16 v9, v17, v9, -v28
	v_pack_b32_f16 v7, v7, v8
	v_mul_f16_sdwa v8, v18, v19 dst_sel:DWORD dst_unused:UNUSED_PAD src0_sel:WORD_1 src1_sel:DWORD
	v_fmac_f16_e32 v11, v17, v21
	s_waitcnt vmcnt(6)
	v_lshrrev_b32_e32 v17, 16, v23
	v_mul_f16_sdwa v21, v20, v23 dst_sel:DWORD dst_unused:UNUSED_PAD src0_sel:WORD_1 src1_sel:DWORD
	v_fma_f16 v19, v18, v19, -v27
	v_fmac_f16_e32 v8, v18, v22
	v_pack_b32_f16 v9, v11, v9
	v_mul_f16_sdwa v11, v20, v17 dst_sel:DWORD dst_unused:UNUSED_PAD src0_sel:WORD_1 src1_sel:DWORD
	v_fma_f16 v17, v20, v17, -v21
	s_waitcnt vmcnt(5)
	v_lshrrev_b32_e32 v18, 16, v24
	s_waitcnt vmcnt(4)
	v_mul_f16_sdwa v21, v25, v24 dst_sel:DWORD dst_unused:UNUSED_PAD src0_sel:WORD_1 src1_sel:DWORD
	v_pack_b32_f16 v8, v8, v19
	s_waitcnt vmcnt(3)
	v_lshrrev_b32_e32 v19, 16, v0
	v_fmac_f16_e32 v11, v20, v23
	s_waitcnt vmcnt(2)
	v_lshrrev_b32_e32 v20, 16, v1
	v_mul_f16_sdwa v22, v25, v18 dst_sel:DWORD dst_unused:UNUSED_PAD src0_sel:WORD_1 src1_sel:DWORD
	v_fma_f16 v18, v25, v18, -v21
	s_waitcnt vmcnt(1)
	v_mul_f16_sdwa v21, v4, v0 dst_sel:DWORD dst_unused:UNUSED_PAD src0_sel:WORD_1 src1_sel:DWORD
	v_mul_f16_sdwa v23, v4, v19 dst_sel:DWORD dst_unused:UNUSED_PAD src0_sel:WORD_1 src1_sel:DWORD
	s_waitcnt vmcnt(0)
	v_mul_f16_sdwa v27, v5, v20 dst_sel:DWORD dst_unused:UNUSED_PAD src0_sel:WORD_1 src1_sel:DWORD
	v_mul_f16_sdwa v28, v5, v1 dst_sel:DWORD dst_unused:UNUSED_PAD src0_sel:WORD_1 src1_sel:DWORD
	v_fmac_f16_e32 v22, v25, v24
	v_fma_f16 v19, v4, v19, -v21
	v_fmac_f16_e32 v23, v4, v0
	v_fmac_f16_e32 v27, v5, v1
	v_fma_f16 v0, v5, v20, -v28
	v_pack_b32_f16 v1, v11, v17
	v_add_nc_u32_e32 v4, 0x600, v39
	v_pack_b32_f16 v5, v22, v18
	v_pack_b32_f16 v11, v23, v19
	;; [unrolled: 1-line block ×3, first 2 shown]
	ds_write2_b32 v39, v26, v6 offset0:63 offset1:161
	ds_write2_b32 v3, v7, v9 offset0:3 offset1:101
	;; [unrolled: 1-line block ×4, first 2 shown]
	ds_write_b32 v39, v0 offset:3388
.LBB0_3:
	s_or_b32 exec_lo, exec_lo, s12
	s_waitcnt lgkmcnt(0)
	s_barrier
	buffer_gl0_inv
	ds_read2_b32 v[4:5], v39 offset1:98
	ds_read2_b32 v[8:9], v2 offset0:68 offset1:166
	ds_read2_b32 v[6:7], v3 offset0:136 offset1:234
	ds_read2_b32 v[10:11], v10 offset0:76 offset1:174
	ds_read_b32 v25, v39 offset:3136
	s_load_dwordx2 s[0:1], s[4:5], 0x8
	v_mov_b32_e32 v1, 0
	v_mov_b32_e32 v17, 0
	v_mov_b32_e32 v18, 0
	v_mov_b32_e32 v2, 0
                                        ; implicit-def: $vgpr20
                                        ; implicit-def: $vgpr22
	s_and_saveexec_b32 s2, vcc_lo
	s_cbranch_execz .LBB0_5
; %bb.4:
	v_add_nc_u32_e32 v2, 0x600, v39
	v_add_nc_u32_e32 v17, 0x800, v39
	;; [unrolled: 1-line block ×3, first 2 shown]
	ds_read2_b32 v[0:1], v39 offset0:63 offset1:161
	ds_read2_b32 v[2:3], v2 offset0:71 offset1:169
	;; [unrolled: 1-line block ×3, first 2 shown]
	ds_read_b32 v22, v39 offset:3388
	ds_read2_b32 v[17:18], v18 offset0:3 offset1:101
.LBB0_5:
	s_or_b32 exec_lo, exec_lo, s2
	v_add_co_u32 v21, s2, v46, 63
	v_add_co_ci_u32_e64 v23, null, 0, 0, s2
	s_waitcnt lgkmcnt(0)
	v_alignbit_b32 v23, v17, v1, 16
	v_alignbit_b32 v24, v20, v22, 16
	;; [unrolled: 1-line block ×4, first 2 shown]
	v_pk_add_f16 v29, v22, v1
	v_pk_add_f16 v22, v18, v19 neg_lo:[0,1] neg_hi:[0,1]
	v_pk_add_f16 v28, v23, v24 neg_lo:[0,1] neg_hi:[0,1]
	v_pk_add_f16 v17, v20, v17
	v_pk_add_f16 v30, v26, v27 neg_lo:[0,1] neg_hi:[0,1]
	v_pk_fma_f16 v20, 0x3a21, v29, v0 op_sel_hi:[0,1,1]
	v_pk_add_f16 v31, v5, v25
	v_pk_mul_f16 v23, 0x3be13924, v28
	v_pk_add_f16 v1, v19, v18
	v_pk_mul_f16 v35, 0x3aee, v22 op_sel_hi:[0,1]
	v_pk_add_f16 v36, v2, v3 neg_lo:[0,1] neg_hi:[0,1]
	v_pk_fma_f16 v19, 0x318f, v17, v20 op_sel_hi:[0,1,1]
	v_pk_fma_f16 v18, 0x39243be1, v30, v23
	v_pk_add_f16 v32, v8, v11
	v_lshrrev_b32_e32 v33, 16, v31
	v_lshrrev_b32_e32 v34, 16, v4
	v_pk_mul_f16 v20, 0x3579, v36 op_sel_hi:[0,1]
	v_pk_add_f16 v18, v18, v35 op_sel:[0,1] op_sel_hi:[1,0]
	v_pk_fma_f16 v19, v1, 0.5, v19 op_sel_hi:[1,0,1] neg_lo:[1,0,0] neg_hi:[1,0,0]
	v_pk_add_f16 v52, v3, v2
	v_fmamk_f16 v38, v33, 0x3a21, v34
	v_lshrrev_b32_e32 v22, 16, v32
	v_pk_add_f16 v18, v18, v20 op_sel:[0,1] op_sel_hi:[1,0]
	v_mul_f16_e32 v23, 0xb924, v36
	v_pk_fma_f16 v20, 0x3b84, v52, v19 op_sel_hi:[0,1,1] neg_lo:[0,1,0] neg_hi:[0,1,0]
	v_lshrrev_b32_e32 v58, 16, v30
	v_fmac_f16_e32 v38, 0x318f, v22
	v_fmac_f16_e32 v34, 0x3a21, v22
	v_fmamk_f16 v24, v52, 0x3a21, v0
	v_pk_add_f16 v19, v20, v18
	v_pk_add_f16 v22, v20, v18 neg_lo:[0,1] neg_hi:[0,1]
	v_mov_b32_e32 v20, 0xb924
	v_pk_mul_f16 v54, v1, 0.5 op_sel_hi:[1,0]
	v_lshrrev_b32_e32 v55, 16, v52
	v_lshrrev_b32_e32 v57, 16, v0
	v_fmac_f16_e32 v23, 0x3be1, v58
	v_mul_f16_sdwa v20, v36, v20 dst_sel:DWORD dst_unused:UNUSED_PAD src0_sel:WORD_1 src1_sel:DWORD
	v_fmac_f16_e32 v24, 0x318f, v29
	v_lshrrev_b32_e32 v59, 16, v29
	v_fmamk_f16 v26, v55, 0x3a21, v57
	v_sub_f16_e32 v60, v23, v35
	v_fmac_f16_e32 v20, 0x3be1, v28
	v_sub_f16_e32 v23, v24, v54
	v_lshrrev_b32_e32 v27, 16, v18
	v_fmac_f16_e32 v26, 0x318f, v59
	v_lshrrev_b32_e32 v62, 16, v17
	v_sub_f16_sdwa v20, v20, v35 dst_sel:DWORD dst_unused:UNUSED_PAD src0_sel:DWORD src1_sel:WORD_1
	v_fmac_f16_e32 v23, 0xbb84, v17
	v_lshrrev_b32_e32 v51, 16, v22
	v_mov_b32_e32 v64, 0x3be1
	v_lshrrev_b32_e32 v61, 16, v28
	v_fmac_f16_e32 v20, 0x3579, v30
	v_sub_f16_sdwa v24, v26, v54 dst_sel:DWORD dst_unused:UNUSED_PAD src0_sel:DWORD src1_sel:WORD_1
	v_add_f16_e32 v26, v58, v36
	v_fmac_f16_e32 v51, 2.0, v27
	v_add_f16_sdwa v63, v28, v36 dst_sel:DWORD dst_unused:UNUSED_PAD src0_sel:DWORD src1_sel:WORD_1
	v_add_f16_e32 v23, v20, v23
	v_pk_add_f16 v27, v29, v17
	v_mul_f16_e32 v68, 0x3be1, v36
	v_mul_f16_sdwa v36, v36, v64 dst_sel:DWORD dst_unused:UNUSED_PAD src0_sel:WORD_1 src1_sel:DWORD
	v_fmamk_f16 v17, v17, 0x3a21, v0
	v_fmac_f16_e32 v57, 0x3a21, v62
	v_fmac_f16_e32 v60, 0x3579, v61
	v_fma_f16 v50, -2.0, v18, v19
	v_fma_f16 v18, -2.0, v20, v23
	v_sub_f16_e32 v20, v26, v61
	v_sub_f16_e32 v63, v63, v30
	v_fma_f16 v61, v61, 0xb924, -v68
	v_fma_f16 v30, v30, 0xb924, -v36
	v_fmac_f16_e32 v17, 0x318f, v52
	v_fmac_f16_e32 v57, 0x318f, v55
	v_pk_add_f16 v26, v0, v1
	v_pk_add_f16 v67, v27, v52
	v_add_f16_e32 v36, v35, v61
	v_add_f16_sdwa v35, v35, v30 dst_sel:DWORD dst_unused:UNUSED_PAD src0_sel:WORD_1 src1_sel:DWORD
	v_sub_f16_e32 v17, v17, v54
	v_sub_f16_sdwa v52, v57, v54 dst_sel:DWORD dst_unused:UNUSED_PAD src0_sel:DWORD src1_sel:WORD_1
	v_fmac_f16_e32 v24, 0xbb84, v62
	v_lshrrev_b32_e32 v66, 16, v26
	v_lshrrev_b32_e32 v62, 16, v67
	v_fmac_f16_e32 v36, 0x3579, v58
	v_fmac_f16_e32 v35, 0x3579, v28
	;; [unrolled: 1-line block ×4, first 2 shown]
	v_pk_add_f16 v5, v5, v25 neg_lo:[0,1] neg_hi:[0,1]
	v_pk_add_f16 v53, v9, v10
	v_sub_f16_e32 v24, v24, v60
	v_fmac_f16_e32 v66, -0.5, v62
	v_add_f16_e32 v28, v17, v35
	v_sub_f16_e32 v29, v52, v36
	v_pk_add_f16 v25, v32, v31
	v_lshrrev_b32_e32 v58, 16, v5
	v_pk_add_f16 v8, v8, v11 neg_lo:[0,1] neg_hi:[0,1]
	v_mul_f16_e32 v65, 0x3aee, v20
	v_fmamk_f16 v30, v20, 0xbaee, v66
	v_fma_f16 v55, 2.0, v60, v24
	v_fma_f16 v20, -2.0, v35, v28
	v_fma_f16 v52, 2.0, v36, v29
	v_mul_lo_u16 v35, v46, 9
	v_mov_b32_e32 v36, 2
	v_pk_add_f16 v11, v53, v25
	v_pk_add_f16 v9, v9, v10 neg_lo:[0,1] neg_hi:[0,1]
	v_mul_f16_e32 v59, 0x3924, v58
	v_lshrrev_b32_e32 v60, 16, v8
	v_lshlrev_b32_sdwa v57, v36, v35 dst_sel:DWORD dst_unused:UNUSED_PAD src0_sel:DWORD src1_sel:WORD_0
	v_pk_add_f16 v11, v6, v11
	v_pk_mul_f16 v35, 0x3aee, v9 op_sel_hi:[0,1]
	v_pk_add_f16 v36, v6, v7 neg_lo:[0,1] neg_hi:[0,1]
	v_fmac_f16_e32 v59, 0x3be1, v60
	v_pk_add_f16 v6, v6, v7
	v_pk_add_f16 v7, v7, v11
	v_fmac_f16_e32 v26, -0.5, v67
	v_mul_f16_e32 v10, 0x3924, v5
	v_add_f16_sdwa v11, v35, v59 dst_sel:DWORD dst_unused:UNUSED_PAD src0_sel:WORD_1 src1_sel:DWORD
	v_pk_mul_f16 v59, 0xb924, v36 op_sel_hi:[0,1]
	v_pk_fma_f16 v61, 0x3a21, v6, v4 op_sel_hi:[0,1,1]
	v_fmamk_f16 v37, v31, 0x3a21, v4
	v_mul_f16_e32 v54, 0x3aee, v63
	v_fmac_f16_e32 v26, 0x3aee, v63
	v_pk_fma_f16 v59, 0x3be1, v5, v59 op_sel_hi:[0,1,1]
	v_pk_fma_f16 v61, 0x318f, v31, v61 op_sel_hi:[0,1,1]
	v_fmac_f16_e32 v10, 0x3be1, v8
	v_lshrrev_b32_e32 v63, 16, v36
	v_fmac_f16_e32 v37, 0x318f, v32
	v_pk_fma_f16 v9, 0x3aee, v9, v59 op_sel_hi:[0,1,1] neg_lo:[0,1,0] neg_hi:[0,1,0]
	v_pk_fma_f16 v59, v53, 0.5, v61 op_sel_hi:[1,0,1] neg_lo:[1,0,0] neg_hi:[1,0,0]
	v_fmamk_f16 v56, v32, 0x3a21, v4
	v_add_f16_e32 v10, v35, v10
	v_pk_mul_f16 v62, v53, 0.5 op_sel_hi:[1,0]
	v_fmac_f16_e32 v11, 0x3579, v63
	v_pk_fma_f16 v32, 0x3b84, v32, v59 op_sel_hi:[0,1,1] neg_lo:[0,1,0] neg_hi:[0,1,0]
	v_mul_f16_e32 v59, 0x3be1, v63
	v_mul_f16_e32 v63, 0x3be1, v36
	v_lshrrev_b32_e32 v64, 16, v6
	v_fmac_f16_e32 v10, 0x3579, v36
	v_sub_f16_e32 v37, v37, v62
	v_fma_f16 v59, v60, 0xb924, -v59
	v_fma_f16 v60, v8, 0xb924, -v63
	v_pk_add_f16 v36, v36, v5
	v_fmac_f16_e32 v56, 0x318f, v6
	v_fmac_f16_e32 v34, 0x318f, v64
	;; [unrolled: 1-line block ×3, first 2 shown]
	v_pk_fma_f16 v9, 0x3579, v8, v9 op_sel_hi:[0,1,1]
	v_pk_add_f16 v7, v7, v4
	v_add_f16_sdwa v59, v35, v59 dst_sel:DWORD dst_unused:UNUSED_PAD src0_sel:WORD_1 src1_sel:DWORD
	v_add_f16_e32 v35, v35, v60
	v_pk_add_f16 v4, v53, v4
	v_pk_add_f16 v8, v36, v8 neg_lo:[0,1] neg_hi:[0,1]
	v_pk_add_f16 v6, v6, v25
	v_sub_f16_e32 v56, v56, v62
	v_sub_f16_sdwa v25, v34, v62 dst_sel:DWORD dst_unused:UNUSED_PAD src0_sel:DWORD src1_sel:WORD_1
	v_sub_f16_sdwa v38, v38, v62 dst_sel:DWORD dst_unused:UNUSED_PAD src0_sel:DWORD src1_sel:WORD_1
	v_fmac_f16_e32 v35, 0x3579, v5
	v_pk_mul_f16 v5, 0x3aee, v8 op_sel_hi:[0,1]
	v_pk_fma_f16 v4, v6, 0.5, v4 op_sel_hi:[1,0,1] neg_lo:[1,0,0] neg_hi:[1,0,0]
	v_fmac_f16_e32 v59, 0x3579, v58
	v_fmac_f16_e32 v56, 0xbb84, v31
	;; [unrolled: 1-line block ×4, first 2 shown]
	v_pk_add_f16 v61, v32, v9 op_sel:[0,1] op_sel_hi:[1,0]
	v_pk_add_f16 v32, v32, v9 op_sel:[0,1] op_sel_hi:[1,0] neg_lo:[0,1] neg_hi:[0,1]
	v_pk_add_f16 v31, v4, v5 op_sel:[0,1] op_sel_hi:[1,0] neg_lo:[0,1] neg_hi:[0,1]
	v_add_f16_e32 v6, v59, v56
	v_sub_f16_e32 v25, v25, v35
	v_fma_f16 v17, -2.0, v54, v26
	v_fma_f16 v54, 2.0, v65, v30
	v_add_f16_e32 v37, v11, v37
	v_sub_f16_e32 v38, v38, v10
	v_lshrrev_b32_e32 v65, 16, v9
	v_lshrrev_b32_e32 v8, 16, v32
	v_pk_add_f16 v4, v4, v5 op_sel:[0,1] op_sel_hi:[1,0]
	v_lshrrev_b32_e32 v33, 16, v5
	v_lshrrev_b32_e32 v34, 16, v31
	v_bfi_b32 v63, 0xffff, v61, v32
	v_fma_f16 v32, -2.0, v59, v6
	v_fma_f16 v35, 2.0, v35, v25
	v_fmac_f16_e32 v61, -2.0, v65
	v_pack_b32_f16 v36, v37, v38
	v_bfi_b32 v31, 0xffff, v4, v31
	v_fmac_f16_e32 v4, -2.0, v33
	v_fmac_f16_e32 v34, 2.0, v5
	v_fmac_f16_e32 v8, 2.0, v9
	v_fma_f16 v11, -2.0, v11, v37
	v_fma_f16 v10, 2.0, v10, v38
	v_mul_u32_u24_e32 v53, 9, v21
	v_pack_b32_f16 v5, v6, v25
	v_pack_b32_f16 v6, v32, v35
	s_barrier
	buffer_gl0_inv
	ds_write2_b32 v57, v7, v36 offset1:1
	v_pack_b32_f16 v4, v4, v34
	v_pack_b32_f16 v7, v61, v8
	;; [unrolled: 1-line block ×3, first 2 shown]
	ds_write2_b32 v57, v63, v31 offset0:2 offset1:3
	ds_write2_b32 v57, v5, v6 offset0:4 offset1:5
	;; [unrolled: 1-line block ×3, first 2 shown]
	ds_write_b32 v57, v8 offset:32
	s_and_saveexec_b32 s2, vcc_lo
	s_cbranch_execz .LBB0_7
; %bb.6:
	v_pk_add_f16 v1, v27, v1
	v_lshlrev_b32_e32 v4, 2, v53
	v_perm_b32 v5, v30, v26, 0x5040100
	v_perm_b32 v6, v24, v23, 0x5040100
	;; [unrolled: 1-line block ×3, first 2 shown]
	v_pk_add_f16 v1, v1, v2
	v_perm_b32 v8, v55, v18, 0x5040100
	v_perm_b32 v9, v54, v17, 0x5040100
	v_bfi_b32 v2, 0xffff, v19, v22
	v_pk_add_f16 v1, v3, v1
	v_perm_b32 v3, v52, v20, 0x5040100
	v_pk_add_f16 v0, v0, v1
	v_perm_b32 v1, v51, v50, 0x5040100
	ds_write2_b32 v4, v6, v5 offset0:2 offset1:3
	ds_write2_b32 v4, v7, v3 offset0:4 offset1:5
	;; [unrolled: 1-line block ×3, first 2 shown]
	ds_write2_b32 v4, v0, v2 offset1:1
	ds_write_b32 v4, v1 offset:32
.LBB0_7:
	s_or_b32 exec_lo, exec_lo, s2
	v_and_b32_e32 v0, 0xff, v46
	v_and_b32_e32 v1, 0xff, v21
	s_waitcnt lgkmcnt(0)
	s_barrier
	buffer_gl0_inv
	v_mul_lo_u16 v0, v0, 57
	v_add_nc_u32_e32 v33, 0x200, v39
	v_add_nc_u32_e32 v34, 0x400, v39
	;; [unrolled: 1-line block ×4, first 2 shown]
	v_lshrrev_b16 v19, 9, v0
	v_mul_lo_u16 v0, v1, 57
	v_add_nc_u32_e32 v36, 0xa00, v39
	v_mov_b32_e32 v58, 63
	v_mad_u64_u32 v[27:28], null, v46, 24, s[0:1]
	v_mul_lo_u16 v1, v19, 9
	v_lshrrev_b16 v38, 9, v0
	v_mul_u32_u24_sdwa v19, v19, v58 dst_sel:DWORD dst_unused:UNUSED_PAD src0_sel:WORD_0 src1_sel:DWORD
	v_sub_nc_u16 v0, v46, v1
	v_mul_lo_u16 v1, v38, 9
	v_mul_u32_u24_sdwa v38, v38, v58 dst_sel:DWORD dst_unused:UNUSED_PAD src0_sel:WORD_0 src1_sel:DWORD
	v_and_b32_e32 v56, 0xff, v0
	v_sub_nc_u16 v0, v21, v1
	v_mul_u32_u24_e32 v1, 6, v56
	v_and_b32_e32 v63, 0xff, v0
	v_add_lshl_u32 v58, v19, v56, 2
	v_lshlrev_b32_e32 v0, 2, v1
	v_mul_u32_u24_e32 v1, 6, v63
	v_add_lshl_u32 v56, v38, v63, 2
	global_load_dwordx4 v[4:7], v0, s[0:1]
	v_lshlrev_b32_e32 v8, 2, v1
	s_clause 0x2
	global_load_dwordx2 v[23:24], v0, s[0:1] offset:16
	global_load_dwordx4 v[0:3], v8, s[0:1]
	global_load_dwordx2 v[21:22], v8, s[0:1] offset:16
	ds_read2_b32 v[8:9], v39 offset0:126 offset1:189
	ds_read2_b32 v[10:11], v33 offset0:124 offset1:187
	;; [unrolled: 1-line block ×6, first 2 shown]
	ds_read2_b32 v[61:62], v39 offset1:63
	s_waitcnt vmcnt(0) lgkmcnt(0)
	s_barrier
	buffer_gl0_inv
	v_lshrrev_b32_e32 v66, 16, v10
	v_lshrrev_b32_e32 v67, 16, v25
	;; [unrolled: 1-line block ×12, first 2 shown]
	v_mul_f16_sdwa v19, v64, v4 dst_sel:DWORD dst_unused:UNUSED_PAD src0_sel:DWORD src1_sel:WORD_1
	v_mul_f16_sdwa v38, v8, v4 dst_sel:DWORD dst_unused:UNUSED_PAD src0_sel:DWORD src1_sel:WORD_1
	;; [unrolled: 1-line block ×22, first 2 shown]
	v_fma_f16 v8, v8, v4, -v19
	v_fma_f16 v10, v10, v5, -v63
	v_fmac_f16_e32 v38, v64, v4
	v_fmac_f16_e32 v76, v66, v5
	;; [unrolled: 1-line block ×4, first 2 shown]
	v_fma_f16 v19, v25, v6, -v77
	v_fma_f16 v25, v29, v7, -v79
	;; [unrolled: 1-line block ×4, first 2 shown]
	v_mul_f16_sdwa v90, v26, v2 dst_sel:DWORD dst_unused:UNUSED_PAD src0_sel:DWORD src1_sel:WORD_1
	v_mul_f16_sdwa v92, v30, v3 dst_sel:DWORD dst_unused:UNUSED_PAD src0_sel:DWORD src1_sel:WORD_1
	v_fma_f16 v9, v9, v0, -v83
	v_fma_f16 v11, v11, v1, -v86
	v_fmac_f16_e32 v78, v67, v6
	v_fmac_f16_e32 v80, v68, v7
	;; [unrolled: 1-line block ×4, first 2 shown]
	v_fma_f16 v32, v32, v21, -v93
	v_fmac_f16_e32 v94, v74, v21
	v_fma_f16 v59, v60, v22, -v95
	v_fmac_f16_e32 v96, v75, v22
	v_fma_f16 v26, v26, v2, -v89
	v_fma_f16 v30, v30, v3, -v91
	v_add_f16_e32 v60, v8, v31
	v_add_f16_e32 v63, v38, v85
	v_sub_f16_e32 v8, v8, v31
	v_sub_f16_e32 v31, v38, v85
	v_add_f16_e32 v38, v10, v29
	v_add_f16_e32 v64, v76, v82
	;; [unrolled: 1-line block ×3, first 2 shown]
	v_fmac_f16_e32 v90, v72, v2
	v_fmac_f16_e32 v92, v73, v3
	v_sub_f16_e32 v10, v10, v29
	v_sub_f16_e32 v29, v76, v82
	v_add_f16_e32 v66, v78, v80
	v_sub_f16_e32 v19, v25, v19
	v_sub_f16_e32 v25, v80, v78
	v_add_f16_e32 v67, v9, v59
	v_add_f16_e32 v68, v87, v96
	;; [unrolled: 1-line block ×4, first 2 shown]
	v_sub_f16_e32 v9, v9, v59
	v_sub_f16_e32 v11, v11, v32
	v_add_f16_e32 v71, v26, v30
	v_sub_f16_e32 v26, v30, v26
	v_add_f16_e32 v73, v38, v60
	v_add_f16_e32 v74, v64, v63
	v_sub_f16_e32 v75, v38, v60
	v_sub_f16_e32 v60, v60, v65
	;; [unrolled: 1-line block ×5, first 2 shown]
	v_add_f16_e32 v72, v90, v92
	v_sub_f16_e32 v30, v92, v90
	v_sub_f16_e32 v76, v64, v63
	;; [unrolled: 1-line block ×4, first 2 shown]
	v_add_f16_e32 v77, v19, v10
	v_add_f16_e32 v78, v25, v29
	v_sub_f16_e32 v79, v19, v10
	v_sub_f16_e32 v80, v25, v29
	v_sub_f16_e32 v10, v10, v8
	v_sub_f16_e32 v29, v29, v31
	v_add_f16_e32 v81, v69, v67
	v_add_f16_e32 v82, v70, v68
	v_sub_f16_e32 v83, v69, v67
	v_sub_f16_e32 v69, v71, v69
	v_add_f16_e32 v85, v26, v11
	v_sub_f16_e32 v87, v26, v11
	v_sub_f16_e32 v11, v11, v9
	v_add_f16_e32 v65, v65, v73
	v_add_f16_e32 v66, v66, v74
	v_mul_f16_e32 v60, 0x3a52, v60
	v_mul_f16_e32 v73, 0x2b26, v38
	v_sub_f16_e32 v84, v70, v68
	v_sub_f16_e32 v70, v72, v70
	v_add_f16_e32 v86, v30, v32
	v_sub_f16_e32 v88, v30, v32
	v_sub_f16_e32 v32, v32, v59
	;; [unrolled: 1-line block ×6, first 2 shown]
	v_add_f16_e32 v8, v77, v8
	v_add_f16_e32 v31, v78, v31
	v_mul_f16_e32 v63, 0x3a52, v63
	v_mul_f16_e32 v74, 0x2b26, v64
	;; [unrolled: 1-line block ×4, first 2 shown]
	v_add_f16_e32 v71, v71, v81
	v_mul_f16_e32 v79, 0x3b00, v10
	v_add_f16_e32 v72, v72, v82
	v_mul_f16_e32 v80, 0x3b00, v29
	v_sub_f16_e32 v26, v9, v26
	v_add_f16_e32 v9, v85, v9
	v_mul_f16_e32 v81, 0x2b26, v69
	v_mul_f16_e32 v85, 0xb846, v87
	;; [unrolled: 1-line block ×3, first 2 shown]
	v_fmamk_f16 v38, v38, 0x2b26, v60
	v_fma_f16 v73, v75, 0x39e0, -v73
	v_fma_f16 v60, v75, 0xb9e0, -v60
	v_add_f16_e32 v75, v61, v65
	v_add_f16_sdwa v61, v61, v66 dst_sel:DWORD dst_unused:UNUSED_PAD src0_sel:WORD_1 src1_sel:DWORD
	v_sub_f16_e32 v30, v59, v30
	v_add_f16_e32 v59, v86, v59
	v_mul_f16_e32 v82, 0x2b26, v70
	v_mul_f16_e32 v86, 0xb846, v88
	;; [unrolled: 1-line block ×5, first 2 shown]
	v_fmamk_f16 v64, v64, 0x2b26, v63
	v_fma_f16 v74, v76, 0x39e0, -v74
	v_fma_f16 v63, v76, 0xb9e0, -v63
	;; [unrolled: 1-line block ×3, first 2 shown]
	v_fmamk_f16 v76, v19, 0x3574, v77
	v_fma_f16 v19, v19, 0xb574, -v79
	v_fma_f16 v29, v29, 0x3b00, -v78
	v_fmamk_f16 v77, v25, 0x3574, v78
	v_fma_f16 v25, v25, 0xb574, -v80
	v_add_f16_e32 v78, v62, v71
	v_add_f16_sdwa v62, v62, v72 dst_sel:DWORD dst_unused:UNUSED_PAD src0_sel:WORD_1 src1_sel:DWORD
	v_fma_f16 v79, v83, 0x39e0, -v81
	v_fmamk_f16 v81, v26, 0x3574, v85
	v_fma_f16 v11, v11, 0x3b00, -v85
	v_fma_f16 v26, v26, 0xb574, -v87
	v_fmamk_f16 v65, v65, 0xbcab, v75
	v_fmamk_f16 v66, v66, 0xbcab, v61
	v_fma_f16 v80, v84, 0x39e0, -v82
	v_fmamk_f16 v82, v30, 0x3574, v86
	v_fma_f16 v32, v32, 0x3b00, -v86
	v_fma_f16 v30, v30, 0xb574, -v88
	v_fmamk_f16 v69, v69, 0x2b26, v67
	v_fmamk_f16 v70, v70, 0x2b26, v68
	v_fma_f16 v67, v83, 0xb9e0, -v67
	v_fma_f16 v68, v84, 0xb9e0, -v68
	v_fmac_f16_e32 v76, 0x370e, v8
	v_fmac_f16_e32 v77, 0x370e, v31
	v_fmac_f16_e32 v10, 0x370e, v8
	v_fmac_f16_e32 v29, 0x370e, v31
	v_fmac_f16_e32 v19, 0x370e, v8
	v_fmac_f16_e32 v25, 0x370e, v31
	v_fmamk_f16 v8, v71, 0xbcab, v78
	v_fmamk_f16 v31, v72, 0xbcab, v62
	v_fmac_f16_e32 v81, 0x370e, v9
	v_fmac_f16_e32 v11, 0x370e, v9
	;; [unrolled: 1-line block ×3, first 2 shown]
	v_pack_b32_f16 v9, v75, v61
	v_add_f16_e32 v38, v38, v65
	v_add_f16_e32 v61, v64, v66
	v_fmac_f16_e32 v82, 0x370e, v59
	v_fmac_f16_e32 v32, 0x370e, v59
	v_fmac_f16_e32 v30, 0x370e, v59
	v_pack_b32_f16 v59, v78, v62
	v_add_f16_e32 v62, v73, v65
	v_add_f16_e32 v64, v74, v66
	;; [unrolled: 1-line block ×11, first 2 shown]
	v_sub_f16_e32 v68, v61, v76
	v_add_f16_e32 v71, v25, v60
	v_sub_f16_e32 v72, v63, v19
	v_sub_f16_e32 v73, v62, v29
	v_add_f16_e32 v74, v10, v64
	v_add_f16_e32 v29, v29, v62
	v_sub_f16_e32 v10, v64, v10
	v_sub_f16_e32 v25, v60, v25
	v_add_f16_e32 v19, v19, v63
	v_sub_f16_e32 v38, v38, v77
	v_add_f16_e32 v60, v76, v61
	v_add_f16_e32 v61, v82, v65
	v_sub_f16_e32 v62, v66, v81
	v_add_f16_e32 v63, v30, v8
	v_sub_f16_e32 v64, v31, v26
	v_sub_f16_e32 v75, v69, v32
	v_add_f16_e32 v76, v11, v70
	v_add_f16_e32 v32, v32, v69
	v_sub_f16_e32 v11, v70, v11
	v_sub_f16_e32 v8, v8, v30
	v_add_f16_e32 v26, v26, v31
	v_sub_f16_e32 v30, v65, v82
	v_add_f16_e32 v31, v81, v66
	v_pack_b32_f16 v65, v67, v68
	v_pack_b32_f16 v66, v71, v72
	;; [unrolled: 1-line block ×12, first 2 shown]
	ds_write2_b32 v58, v9, v65 offset1:9
	ds_write2_b32 v58, v66, v67 offset0:18 offset1:27
	ds_write2_b32 v58, v10, v19 offset0:36 offset1:45
	ds_write_b32 v58, v25 offset:216
	ds_write2_b32 v56, v59, v29 offset1:9
	ds_write2_b32 v56, v38, v60 offset0:18 offset1:27
	ds_write2_b32 v56, v11, v8 offset0:36 offset1:45
	ds_write_b32 v56, v26 offset:216
	s_waitcnt lgkmcnt(0)
	s_barrier
	buffer_gl0_inv
	s_clause 0x1
	global_load_dwordx4 v[8:11], v[27:28], off offset:216
	global_load_dwordx2 v[25:26], v[27:28], off offset:232
	ds_read2_b32 v[29:30], v39 offset0:126 offset1:189
	ds_read2_b32 v[31:32], v33 offset0:124 offset1:187
	;; [unrolled: 1-line block ×6, first 2 shown]
	v_mul_i32_i24_e32 v19, 0xffffffec, v46
	v_mul_hi_i32_i24_e32 v38, 0xffffffec, v46
	ds_read2_b32 v[69:70], v39 offset1:63
	s_waitcnt vmcnt(0) lgkmcnt(0)
	s_barrier
	v_add_co_u32 v27, s0, v27, v19
	v_add_co_ci_u32_e64 v28, s0, v28, v38, s0
	buffer_gl0_inv
	v_add_co_u32 v67, s0, 0x800, v27
	v_add_co_ci_u32_e64 v68, s0, 0, v28, s0
	v_lshrrev_b32_e32 v19, 16, v29
	v_lshrrev_b32_e32 v38, 16, v31
	;; [unrolled: 1-line block ×12, first 2 shown]
	v_mul_f16_sdwa v81, v19, v8 dst_sel:DWORD dst_unused:UNUSED_PAD src0_sel:DWORD src1_sel:WORD_1
	v_mul_f16_sdwa v82, v29, v8 dst_sel:DWORD dst_unused:UNUSED_PAD src0_sel:DWORD src1_sel:WORD_1
	;; [unrolled: 1-line block ×24, first 2 shown]
	v_fma_f16 v29, v29, v8, -v81
	v_fma_f16 v30, v30, v8, -v87
	;; [unrolled: 1-line block ×6, first 2 shown]
	v_fmac_f16_e32 v82, v19, v8
	v_fmac_f16_e32 v84, v38, v9
	;; [unrolled: 1-line block ×5, first 2 shown]
	v_fma_f16 v19, v61, v11, -v88
	v_fma_f16 v38, v63, v25, -v94
	;; [unrolled: 1-line block ×3, first 2 shown]
	v_fmac_f16_e32 v95, v77, v10
	v_fma_f16 v62, v62, v11, -v99
	v_fmac_f16_e32 v100, v78, v11
	v_fma_f16 v63, v64, v25, -v101
	;; [unrolled: 2-line block ×3, first 2 shown]
	v_fmac_f16_e32 v86, v71, v10
	v_fmac_f16_e32 v89, v72, v11
	;; [unrolled: 1-line block ×4, first 2 shown]
	v_add_f16_e32 v65, v29, v61
	v_add_f16_e32 v66, v82, v98
	v_sub_f16_e32 v29, v29, v61
	v_add_f16_e32 v71, v31, v38
	v_add_f16_e32 v72, v84, v96
	v_sub_f16_e32 v31, v31, v38
	v_add_f16_e32 v73, v59, v19
	v_sub_f16_e32 v19, v19, v59
	;; [unrolled: 2-line block ×4, first 2 shown]
	v_sub_f16_e32 v63, v93, v102
	v_add_f16_e32 v79, v60, v62
	v_sub_f16_e32 v60, v62, v60
	v_sub_f16_e32 v62, v100, v95
	;; [unrolled: 1-line block ×4, first 2 shown]
	v_add_f16_e32 v74, v86, v89
	v_sub_f16_e32 v59, v89, v86
	v_add_f16_e32 v76, v91, v104
	v_sub_f16_e32 v64, v91, v104
	v_add_f16_e32 v78, v93, v102
	v_add_f16_e32 v80, v95, v100
	;; [unrolled: 1-line block ×4, first 2 shown]
	v_sub_f16_e32 v83, v71, v65
	v_sub_f16_e32 v65, v65, v73
	;; [unrolled: 1-line block ×3, first 2 shown]
	v_add_f16_e32 v85, v19, v31
	v_sub_f16_e32 v87, v19, v31
	v_sub_f16_e32 v31, v31, v29
	v_add_f16_e32 v89, v77, v75
	v_sub_f16_e32 v91, v77, v75
	v_sub_f16_e32 v77, v79, v77
	v_add_f16_e32 v93, v60, v32
	v_add_f16_e32 v94, v62, v63
	v_sub_f16_e32 v95, v60, v32
	v_sub_f16_e32 v32, v32, v30
	;; [unrolled: 1-line block ×5, first 2 shown]
	v_add_f16_e32 v86, v59, v38
	v_sub_f16_e32 v88, v59, v38
	v_sub_f16_e32 v38, v38, v61
	v_add_f16_e32 v90, v78, v76
	v_sub_f16_e32 v92, v78, v76
	v_sub_f16_e32 v78, v80, v78
	;; [unrolled: 1-line block ×8, first 2 shown]
	v_add_f16_e32 v73, v73, v81
	v_add_f16_e32 v74, v74, v82
	;; [unrolled: 1-line block ×4, first 2 shown]
	v_mul_f16_e32 v65, 0x3a52, v65
	v_add_f16_e32 v30, v93, v30
	v_mul_f16_e32 v81, 0x2b26, v71
	v_add_f16_e32 v64, v94, v64
	v_mul_f16_e32 v85, 0xb846, v87
	v_mul_f16_e32 v87, 0x3b00, v31
	;; [unrolled: 1-line block ×5, first 2 shown]
	v_sub_f16_e32 v59, v61, v59
	v_sub_f16_e32 v76, v76, v80
	v_add_f16_e32 v61, v86, v61
	v_add_f16_e32 v80, v80, v90
	v_mul_f16_e32 v66, 0x3a52, v66
	v_mul_f16_e32 v82, 0x2b26, v72
	;; [unrolled: 1-line block ×7, first 2 shown]
	v_fmamk_f16 v71, v71, 0x2b26, v65
	v_fma_f16 v81, v83, 0x39e0, -v81
	v_fma_f16 v65, v83, 0xb9e0, -v65
	v_fma_f16 v31, v31, 0x3b00, -v85
	v_fmamk_f16 v83, v19, 0x3574, v85
	v_fma_f16 v19, v19, 0xb574, -v87
	v_add_f16_e32 v85, v69, v73
	v_add_f16_sdwa v69, v69, v74 dst_sel:DWORD dst_unused:UNUSED_PAD src0_sel:WORD_1 src1_sel:DWORD
	v_fma_f16 v87, v91, 0x39e0, -v89
	v_fma_f16 v32, v32, 0x3b00, -v93
	v_fmamk_f16 v89, v60, 0x3574, v93
	v_fma_f16 v60, v60, 0xb574, -v94
	v_mul_f16_e32 v75, 0x3a52, v75
	v_mul_f16_e32 v76, 0x3a52, v76
	v_fmamk_f16 v72, v72, 0x2b26, v66
	v_fma_f16 v82, v84, 0x39e0, -v82
	v_fma_f16 v66, v84, 0xb9e0, -v66
	;; [unrolled: 1-line block ×3, first 2 shown]
	v_fmamk_f16 v84, v59, 0x3574, v86
	v_fma_f16 v59, v59, 0xb574, -v88
	v_add_f16_e32 v86, v70, v79
	v_add_f16_sdwa v70, v70, v80 dst_sel:DWORD dst_unused:UNUSED_PAD src0_sel:WORD_1 src1_sel:DWORD
	v_fma_f16 v88, v92, 0x39e0, -v90
	v_fma_f16 v63, v63, 0x3b00, -v95
	v_fmamk_f16 v90, v62, 0x3574, v95
	v_fma_f16 v62, v62, 0xb574, -v96
	v_fmac_f16_e32 v83, 0x370e, v29
	v_fmac_f16_e32 v31, 0x370e, v29
	;; [unrolled: 1-line block ×6, first 2 shown]
	v_fmamk_f16 v29, v73, 0xbcab, v85
	v_fmamk_f16 v30, v74, 0xbcab, v69
	;; [unrolled: 1-line block ×3, first 2 shown]
	v_fma_f16 v75, v91, 0xb9e0, -v75
	v_fmamk_f16 v78, v78, 0x2b26, v76
	v_fma_f16 v76, v92, 0xb9e0, -v76
	v_fmac_f16_e32 v84, 0x370e, v61
	v_fmac_f16_e32 v38, 0x370e, v61
	;; [unrolled: 1-line block ×6, first 2 shown]
	v_fmamk_f16 v61, v79, 0xbcab, v86
	v_fmamk_f16 v64, v80, 0xbcab, v70
	v_add_f16_e32 v71, v71, v29
	v_add_f16_e32 v72, v72, v30
	;; [unrolled: 1-line block ×13, first 2 shown]
	v_sub_f16_e32 v76, v72, v83
	v_add_f16_e32 v79, v59, v29
	v_sub_f16_e32 v80, v30, v19
	v_sub_f16_e32 v81, v73, v38
	v_add_f16_e32 v82, v31, v74
	v_add_f16_e32 v38, v38, v73
	v_sub_f16_e32 v31, v74, v31
	v_sub_f16_e32 v29, v29, v59
	v_add_f16_e32 v19, v19, v30
	v_sub_f16_e32 v30, v71, v84
	v_add_f16_e32 v59, v83, v72
	v_add_f16_e32 v71, v90, v65
	v_sub_f16_e32 v72, v66, v89
	v_add_f16_e32 v73, v62, v61
	v_sub_f16_e32 v74, v64, v60
	v_sub_f16_e32 v83, v77, v63
	v_add_f16_e32 v84, v32, v78
	v_sub_f16_e32 v61, v61, v62
	v_add_f16_e32 v60, v60, v64
	;; [unrolled: 2-line block ×3, first 2 shown]
	v_pack_b32_f16 v69, v85, v69
	v_add_f16_e32 v63, v63, v77
	v_sub_f16_e32 v32, v78, v32
	v_pack_b32_f16 v65, v75, v76
	v_pack_b32_f16 v66, v79, v80
	;; [unrolled: 1-line block ×13, first 2 shown]
	ds_write2_b32 v39, v69, v65 offset1:63
	ds_write2_b32 v39, v66, v75 offset0:126 offset1:189
	ds_write2_b32 v33, v31, v19 offset0:124 offset1:187
	;; [unrolled: 1-line block ×6, first 2 shown]
	s_waitcnt lgkmcnt(0)
	s_barrier
	buffer_gl0_inv
	s_clause 0x6
	global_load_dword v65, v[27:28], off offset:1728
	global_load_dword v63, v[27:28], off offset:1980
	;; [unrolled: 1-line block ×7, first 2 shown]
	ds_read2_b32 v[68:69], v34 offset0:122 offset1:185
	ds_read2_b32 v[27:28], v35 offset0:120 offset1:183
	;; [unrolled: 1-line block ×4, first 2 shown]
	ds_read2_b32 v[70:71], v39 offset1:63
	ds_read2_b32 v[72:73], v39 offset0:126 offset1:189
	ds_read2_b32 v[74:75], v33 offset0:124 offset1:187
	v_add_co_u32 v31, s0, 0xdc8, v14
	v_add_co_ci_u32_e64 v32, s0, 0, v15, s0
	s_waitcnt lgkmcnt(6)
	v_lshrrev_b32_e32 v19, 16, v69
	s_waitcnt lgkmcnt(5)
	v_lshrrev_b32_e32 v38, 16, v27
	s_waitcnt lgkmcnt(4)
	v_lshrrev_b32_e32 v77, 16, v29
	s_waitcnt lgkmcnt(3)
	v_lshrrev_b32_e32 v79, 16, v66
	v_lshrrev_b32_e32 v76, 16, v28
	v_lshrrev_b32_e32 v78, 16, v30
	;; [unrolled: 1-line block ×3, first 2 shown]
	s_waitcnt lgkmcnt(2)
	v_lshrrev_b32_e32 v81, 16, v70
	v_lshrrev_b32_e32 v82, 16, v71
	s_waitcnt lgkmcnt(1)
	v_lshrrev_b32_e32 v83, 16, v72
	v_lshrrev_b32_e32 v84, 16, v73
	;; [unrolled: 3-line block ×3, first 2 shown]
	v_lshrrev_b32_e32 v87, 16, v68
	s_waitcnt vmcnt(6)
	v_mul_f16_sdwa v88, v69, v65 dst_sel:DWORD dst_unused:UNUSED_PAD src0_sel:DWORD src1_sel:WORD_1
	s_waitcnt vmcnt(5)
	v_mul_f16_sdwa v89, v38, v63 dst_sel:DWORD dst_unused:UNUSED_PAD src0_sel:DWORD src1_sel:WORD_1
	v_mul_f16_sdwa v91, v27, v63 dst_sel:DWORD dst_unused:UNUSED_PAD src0_sel:DWORD src1_sel:WORD_1
	s_waitcnt vmcnt(3)
	v_mul_f16_sdwa v92, v77, v60 dst_sel:DWORD dst_unused:UNUSED_PAD src0_sel:DWORD src1_sel:WORD_1
	;; [unrolled: 3-line block ×3, first 2 shown]
	v_mul_f16_sdwa v90, v76, v64 dst_sel:DWORD dst_unused:UNUSED_PAD src0_sel:DWORD src1_sel:WORD_1
	v_mul_f16_sdwa v94, v28, v64 dst_sel:DWORD dst_unused:UNUSED_PAD src0_sel:DWORD src1_sel:WORD_1
	;; [unrolled: 1-line block ×6, first 2 shown]
	s_waitcnt vmcnt(0)
	v_mul_f16_sdwa v97, v80, v59 dst_sel:DWORD dst_unused:UNUSED_PAD src0_sel:DWORD src1_sel:WORD_1
	v_mul_f16_sdwa v100, v67, v59 dst_sel:DWORD dst_unused:UNUSED_PAD src0_sel:DWORD src1_sel:WORD_1
	v_fma_f16 v27, v27, v63, -v89
	v_fma_f16 v29, v29, v60, -v92
	;; [unrolled: 1-line block ×3, first 2 shown]
	v_fmac_f16_e32 v91, v38, v63
	v_fmac_f16_e32 v88, v19, v65
	v_fma_f16 v19, v69, v65, -v101
	v_fma_f16 v28, v28, v64, -v90
	v_fmac_f16_e32 v94, v76, v64
	v_fmac_f16_e32 v95, v77, v60
	v_fma_f16 v30, v30, v61, -v93
	v_fmac_f16_e32 v98, v78, v61
	v_fmac_f16_e32 v99, v79, v62
	v_fma_f16 v67, v67, v59, -v97
	v_fmac_f16_e32 v100, v80, v59
	v_sub_f16_e32 v38, v70, v19
	v_sub_f16_e32 v76, v71, v27
	;; [unrolled: 1-line block ×14, first 2 shown]
	v_fma_f16 v90, v70, 2.0, -v38
	v_fma_f16 v71, v71, 2.0, -v76
	;; [unrolled: 1-line block ×12, first 2 shown]
	v_pack_b32_f16 v76, v76, v80
	v_pack_b32_f16 v77, v77, v88
	v_fma_f16 v30, v68, 2.0, -v19
	v_fma_f16 v68, v87, 2.0, -v67
	v_pack_b32_f16 v38, v38, v79
	v_pack_b32_f16 v78, v78, v89
	;; [unrolled: 1-line block ×9, first 2 shown]
	ds_write2_b32 v35, v76, v77 offset0:120 offset1:183
	v_pack_b32_f16 v74, v74, v84
	v_pack_b32_f16 v76, v28, v70
	;; [unrolled: 1-line block ×3, first 2 shown]
	ds_write2_b32 v37, v78, v79 offset0:118 offset1:181
	ds_write2_b32 v36, v80, v85 offset0:116 offset1:179
	ds_write2_b32 v39, v75, v71 offset1:63
	ds_write2_b32 v39, v72, v73 offset0:126 offset1:189
	ds_write2_b32 v33, v74, v76 offset0:124 offset1:187
	;; [unrolled: 1-line block ×3, first 2 shown]
	s_waitcnt lgkmcnt(0)
	s_barrier
	buffer_gl0_inv
	s_clause 0x1
	global_load_dword v36, v[12:13], off offset:1480
	global_load_dword v38, v[31:32], off offset:392
	v_add_co_u32 v71, s0, 0x1000, v14
	v_add_co_ci_u32_e64 v72, s0, 0, v15, s0
	v_add_co_u32 v73, s0, 0x1800, v14
	s_clause 0x2
	global_load_dword v77, v[31:32], off offset:784
	global_load_dword v78, v[31:32], off offset:1176
	;; [unrolled: 1-line block ×3, first 2 shown]
	v_add_co_ci_u32_e64 v74, s0, 0, v15, s0
	s_clause 0x3
	global_load_dword v80, v[31:32], off offset:1960
	global_load_dword v81, v[71:72], off offset:1784
	;; [unrolled: 1-line block ×4, first 2 shown]
	ds_read2_b32 v[71:72], v39 offset1:98
	s_waitcnt lgkmcnt(0)
	v_lshrrev_b32_e32 v73, 16, v71
	v_lshrrev_b32_e32 v74, 16, v72
	s_waitcnt vmcnt(8)
	v_mul_f16_sdwa v75, v73, v36 dst_sel:DWORD dst_unused:UNUSED_PAD src0_sel:DWORD src1_sel:WORD_1
	v_mul_f16_sdwa v76, v71, v36 dst_sel:DWORD dst_unused:UNUSED_PAD src0_sel:DWORD src1_sel:WORD_1
	s_waitcnt vmcnt(7)
	v_mul_f16_sdwa v84, v74, v38 dst_sel:DWORD dst_unused:UNUSED_PAD src0_sel:DWORD src1_sel:WORD_1
	v_mul_f16_sdwa v85, v72, v38 dst_sel:DWORD dst_unused:UNUSED_PAD src0_sel:DWORD src1_sel:WORD_1
	v_fma_f16 v71, v71, v36, -v75
	v_fmac_f16_e32 v76, v73, v36
	v_fma_f16 v36, v72, v38, -v84
	v_fmac_f16_e32 v85, v74, v38
	v_pack_b32_f16 v38, v71, v76
	v_pack_b32_f16 v36, v36, v85
	ds_write2_b32 v39, v38, v36 offset1:98
	ds_read2_b32 v[71:72], v33 offset0:68 offset1:166
	ds_read2_b32 v[73:74], v34 offset0:136 offset1:234
	;; [unrolled: 1-line block ×3, first 2 shown]
	ds_read_b32 v36, v39 offset:3136
	s_waitcnt lgkmcnt(3)
	v_lshrrev_b32_e32 v38, 16, v71
	v_lshrrev_b32_e32 v84, 16, v72
	s_waitcnt vmcnt(6)
	v_mul_f16_sdwa v85, v71, v77 dst_sel:DWORD dst_unused:UNUSED_PAD src0_sel:DWORD src1_sel:WORD_1
	s_waitcnt vmcnt(5)
	v_mul_f16_sdwa v86, v72, v78 dst_sel:DWORD dst_unused:UNUSED_PAD src0_sel:DWORD src1_sel:WORD_1
	s_waitcnt lgkmcnt(2)
	v_lshrrev_b32_e32 v87, 16, v73
	v_lshrrev_b32_e32 v89, 16, v74
	s_waitcnt vmcnt(4)
	v_mul_f16_sdwa v88, v73, v79 dst_sel:DWORD dst_unused:UNUSED_PAD src0_sel:DWORD src1_sel:WORD_1
	s_waitcnt vmcnt(3)
	v_mul_f16_sdwa v90, v74, v80 dst_sel:DWORD dst_unused:UNUSED_PAD src0_sel:DWORD src1_sel:WORD_1
	s_waitcnt lgkmcnt(1)
	v_lshrrev_b32_e32 v91, 16, v75
	v_lshrrev_b32_e32 v93, 16, v76
	s_waitcnt vmcnt(2)
	v_mul_f16_sdwa v92, v75, v81 dst_sel:DWORD dst_unused:UNUSED_PAD src0_sel:DWORD src1_sel:WORD_1
	s_waitcnt lgkmcnt(0)
	v_lshrrev_b32_e32 v95, 16, v36
	v_mul_f16_sdwa v97, v38, v77 dst_sel:DWORD dst_unused:UNUSED_PAD src0_sel:DWORD src1_sel:WORD_1
	v_mul_f16_sdwa v98, v84, v78 dst_sel:DWORD dst_unused:UNUSED_PAD src0_sel:DWORD src1_sel:WORD_1
	v_fmac_f16_e32 v85, v38, v77
	v_fmac_f16_e32 v86, v84, v78
	v_mul_f16_sdwa v38, v87, v79 dst_sel:DWORD dst_unused:UNUSED_PAD src0_sel:DWORD src1_sel:WORD_1
	v_mul_f16_sdwa v84, v89, v80 dst_sel:DWORD dst_unused:UNUSED_PAD src0_sel:DWORD src1_sel:WORD_1
	s_waitcnt vmcnt(1)
	v_mul_f16_sdwa v94, v76, v82 dst_sel:DWORD dst_unused:UNUSED_PAD src0_sel:DWORD src1_sel:WORD_1
	v_fmac_f16_e32 v88, v87, v79
	v_fmac_f16_e32 v90, v89, v80
	v_mul_f16_sdwa v87, v91, v81 dst_sel:DWORD dst_unused:UNUSED_PAD src0_sel:DWORD src1_sel:WORD_1
	v_mul_f16_sdwa v89, v93, v82 dst_sel:DWORD dst_unused:UNUSED_PAD src0_sel:DWORD src1_sel:WORD_1
	s_waitcnt vmcnt(0)
	v_mul_f16_sdwa v96, v36, v83 dst_sel:DWORD dst_unused:UNUSED_PAD src0_sel:DWORD src1_sel:WORD_1
	v_fmac_f16_e32 v92, v91, v81
	v_mul_f16_sdwa v91, v95, v83 dst_sel:DWORD dst_unused:UNUSED_PAD src0_sel:DWORD src1_sel:WORD_1
	v_fma_f16 v71, v71, v77, -v97
	v_fma_f16 v72, v72, v78, -v98
	;; [unrolled: 1-line block ×4, first 2 shown]
	v_fmac_f16_e32 v94, v93, v82
	v_fma_f16 v74, v75, v81, -v87
	v_fma_f16 v75, v76, v82, -v89
	v_fmac_f16_e32 v96, v95, v83
	v_fma_f16 v36, v36, v83, -v91
	v_pack_b32_f16 v71, v71, v85
	v_pack_b32_f16 v72, v72, v86
	;; [unrolled: 1-line block ×7, first 2 shown]
	ds_write2_b32 v33, v71, v72 offset0:68 offset1:166
	ds_write2_b32 v34, v38, v73 offset0:136 offset1:234
	;; [unrolled: 1-line block ×3, first 2 shown]
	ds_write_b32 v39, v36 offset:3136
	s_and_saveexec_b32 s1, vcc_lo
	s_cbranch_execz .LBB0_9
; %bb.8:
	s_clause 0x2
	global_load_dword v36, v[31:32], off offset:252
	global_load_dword v38, v[31:32], off offset:644
	;; [unrolled: 1-line block ×3, first 2 shown]
	v_add_co_u32 v71, s0, 0x800, v31
	v_add_co_ci_u32_e64 v72, s0, 0, v32, s0
	s_clause 0x5
	global_load_dword v76, v[31:32], off offset:1428
	global_load_dword v77, v[31:32], off offset:1820
	;; [unrolled: 1-line block ×6, first 2 shown]
	ds_read2_b32 v[31:32], v39 offset0:63 offset1:161
	s_waitcnt lgkmcnt(0)
	v_lshrrev_b32_e32 v71, 16, v31
	v_lshrrev_b32_e32 v72, 16, v32
	s_waitcnt vmcnt(8)
	v_mul_f16_sdwa v73, v71, v36 dst_sel:DWORD dst_unused:UNUSED_PAD src0_sel:DWORD src1_sel:WORD_1
	v_mul_f16_sdwa v74, v31, v36 dst_sel:DWORD dst_unused:UNUSED_PAD src0_sel:DWORD src1_sel:WORD_1
	s_waitcnt vmcnt(7)
	v_mul_f16_sdwa v82, v72, v38 dst_sel:DWORD dst_unused:UNUSED_PAD src0_sel:DWORD src1_sel:WORD_1
	v_mul_f16_sdwa v83, v32, v38 dst_sel:DWORD dst_unused:UNUSED_PAD src0_sel:DWORD src1_sel:WORD_1
	v_fma_f16 v31, v31, v36, -v73
	v_fmac_f16_e32 v74, v71, v36
	v_fma_f16 v32, v32, v38, -v82
	v_fmac_f16_e32 v83, v72, v38
	v_pack_b32_f16 v31, v31, v74
	v_pack_b32_f16 v32, v32, v83
	ds_write2_b32 v39, v31, v32 offset0:63 offset1:161
	ds_read2_b32 v[31:32], v34 offset0:3 offset1:101
	ds_read2_b32 v[71:72], v35 offset0:71 offset1:169
	;; [unrolled: 1-line block ×3, first 2 shown]
	ds_read_b32 v36, v39 offset:3388
	s_waitcnt lgkmcnt(3)
	v_lshrrev_b32_e32 v38, 16, v31
	s_waitcnt vmcnt(6)
	v_mul_f16_sdwa v82, v31, v75 dst_sel:DWORD dst_unused:UNUSED_PAD src0_sel:DWORD src1_sel:WORD_1
	v_lshrrev_b32_e32 v83, 16, v32
	s_waitcnt vmcnt(5)
	v_mul_f16_sdwa v84, v32, v76 dst_sel:DWORD dst_unused:UNUSED_PAD src0_sel:DWORD src1_sel:WORD_1
	s_waitcnt lgkmcnt(2)
	v_lshrrev_b32_e32 v85, 16, v71
	s_waitcnt vmcnt(4)
	v_mul_f16_sdwa v86, v71, v77 dst_sel:DWORD dst_unused:UNUSED_PAD src0_sel:DWORD src1_sel:WORD_1
	v_lshrrev_b32_e32 v87, 16, v72
	s_waitcnt vmcnt(3)
	v_mul_f16_sdwa v88, v72, v78 dst_sel:DWORD dst_unused:UNUSED_PAD src0_sel:DWORD src1_sel:WORD_1
	;; [unrolled: 7-line block ×3, first 2 shown]
	s_waitcnt lgkmcnt(0)
	v_lshrrev_b32_e32 v93, 16, v36
	v_mul_f16_sdwa v95, v38, v75 dst_sel:DWORD dst_unused:UNUSED_PAD src0_sel:DWORD src1_sel:WORD_1
	v_fmac_f16_e32 v82, v38, v75
	v_mul_f16_sdwa v38, v83, v76 dst_sel:DWORD dst_unused:UNUSED_PAD src0_sel:DWORD src1_sel:WORD_1
	v_fmac_f16_e32 v84, v83, v76
	;; [unrolled: 2-line block ×5, first 2 shown]
	v_mul_f16_sdwa v89, v91, v80 dst_sel:DWORD dst_unused:UNUSED_PAD src0_sel:DWORD src1_sel:WORD_1
	s_waitcnt vmcnt(0)
	v_mul_f16_sdwa v94, v36, v81 dst_sel:DWORD dst_unused:UNUSED_PAD src0_sel:DWORD src1_sel:WORD_1
	v_fmac_f16_e32 v92, v91, v80
	v_mul_f16_sdwa v91, v93, v81 dst_sel:DWORD dst_unused:UNUSED_PAD src0_sel:DWORD src1_sel:WORD_1
	v_fma_f16 v31, v31, v75, -v95
	v_fma_f16 v32, v32, v76, -v38
	;; [unrolled: 1-line block ×6, first 2 shown]
	v_fmac_f16_e32 v94, v93, v81
	v_fma_f16 v36, v36, v81, -v91
	v_pack_b32_f16 v31, v31, v82
	v_pack_b32_f16 v32, v32, v84
	;; [unrolled: 1-line block ×7, first 2 shown]
	ds_write2_b32 v34, v31, v32 offset0:3 offset1:101
	ds_write2_b32 v35, v38, v71 offset0:71 offset1:169
	;; [unrolled: 1-line block ×3, first 2 shown]
	ds_write_b32 v39, v36 offset:3388
.LBB0_9:
	s_or_b32 exec_lo, exec_lo, s1
	s_waitcnt lgkmcnt(0)
	s_barrier
	buffer_gl0_inv
	ds_read2_b32 v[31:32], v39 offset1:98
	ds_read2_b32 v[35:36], v33 offset0:68 offset1:166
	ds_read2_b32 v[33:34], v34 offset0:136 offset1:234
	;; [unrolled: 1-line block ×3, first 2 shown]
	ds_read_b32 v71, v39 offset:3136
	s_and_saveexec_b32 s0, vcc_lo
	s_cbranch_execz .LBB0_11
; %bb.10:
	v_add_nc_u32_e32 v17, 0x400, v39
	v_add_nc_u32_e32 v18, 0x600, v39
	;; [unrolled: 1-line block ×3, first 2 shown]
	ds_read2_b32 v[27:28], v39 offset0:63 offset1:161
	ds_read2_b32 v[29:30], v17 offset0:3 offset1:101
	;; [unrolled: 1-line block ×4, first 2 shown]
	ds_read_b32 v50, v39 offset:3388
	s_waitcnt lgkmcnt(3)
	v_lshrrev_b32_e32 v69, 16, v29
	v_lshrrev_b32_e32 v66, 16, v27
	;; [unrolled: 1-line block ×4, first 2 shown]
	s_waitcnt lgkmcnt(2)
	v_lshrrev_b32_e32 v67, 16, v19
	v_lshrrev_b32_e32 v52, 16, v20
	s_waitcnt lgkmcnt(1)
	v_lshrrev_b32_e32 v54, 16, v17
	v_lshrrev_b32_e32 v55, 16, v18
	s_waitcnt lgkmcnt(0)
	v_lshrrev_b32_e32 v51, 16, v50
.LBB0_11:
	s_or_b32 exec_lo, exec_lo, s0
	s_waitcnt lgkmcnt(0)
	v_pk_add_f16 v72, v32, v71
	v_pk_add_f16 v73, v35, v38
	v_lshrrev_b32_e32 v75, 16, v31
	v_pk_add_f16 v74, v36, v37
	v_pk_add_f16 v32, v32, v71 neg_lo:[0,1] neg_hi:[0,1]
	v_lshrrev_b32_e32 v76, 16, v72
	v_lshrrev_b32_e32 v77, 16, v73
	v_pk_add_f16 v78, v73, v72
	v_pk_add_f16 v35, v35, v38 neg_lo:[0,1] neg_hi:[0,1]
	v_pk_add_f16 v36, v36, v37 neg_lo:[0,1] neg_hi:[0,1]
	v_fmamk_f16 v79, v76, 0x3a21, v75
	v_fmac_f16_e32 v75, 0x3a21, v77
	v_pk_add_f16 v81, v74, v78
	v_mul_f16_e32 v37, 0x3924, v32
	v_lshrrev_b32_e32 v82, 16, v35
	v_fmac_f16_e32 v79, 0x318f, v77
	v_lshrrev_b32_e32 v77, 16, v32
	v_pk_add_f16 v38, v33, v81
	v_pk_mul_f16 v83, 0x3aee, v36 op_sel_hi:[0,1]
	v_fmac_f16_e32 v37, 0x3be1, v35
	v_pk_add_f16 v84, v33, v34 neg_lo:[0,1] neg_hi:[0,1]
	v_mul_f16_e32 v81, 0x3924, v77
	v_pk_add_f16 v33, v33, v34
	v_pk_add_f16 v38, v34, v38
	v_add_f16_e32 v34, v83, v37
	v_fmamk_f16 v71, v72, 0x3a21, v31
	v_fmac_f16_e32 v81, 0x3be1, v82
	v_pk_fma_f16 v86, 0x3a21, v33, v31 op_sel_hi:[0,1,1]
	v_lshrrev_b32_e32 v87, 16, v84
	v_fmamk_f16 v80, v73, 0x3a21, v31
	v_fmac_f16_e32 v71, 0x318f, v73
	v_add_f16_sdwa v37, v83, v81 dst_sel:DWORD dst_unused:UNUSED_PAD src0_sel:WORD_1 src1_sel:DWORD
	v_pk_mul_f16 v81, 0xb924, v84 op_sel_hi:[0,1]
	v_pk_fma_f16 v86, 0x318f, v72, v86 op_sel_hi:[0,1,1]
	v_pk_mul_f16 v85, v74, 0.5 op_sel_hi:[1,0]
	v_lshrrev_b32_e32 v88, 16, v33
	v_fmac_f16_e32 v80, 0x318f, v33
	v_pk_fma_f16 v81, 0x3be1, v32, v81 op_sel_hi:[0,1,1]
	v_pk_add_f16 v38, v38, v31
	v_sub_f16_e32 v71, v71, v85
	v_fmac_f16_e32 v75, 0x318f, v88
	v_pk_add_f16 v31, v74, v31
	v_pk_fma_f16 v36, 0x3aee, v36, v81 op_sel_hi:[0,1,1] neg_lo:[0,1,0] neg_hi:[0,1,0]
	v_pk_fma_f16 v81, v74, 0.5, v86 op_sel_hi:[1,0,1] neg_lo:[1,0,0] neg_hi:[1,0,0]
	v_mul_f16_e32 v86, 0x3be1, v84
	v_fmac_f16_e32 v71, 0xbb84, v33
	v_pk_add_f16 v33, v33, v78
	v_pk_fma_f16 v36, 0x3579, v35, v36 op_sel_hi:[0,1,1]
	v_pk_fma_f16 v73, 0xbb84, v73, v81 op_sel_hi:[0,1,1]
	v_mul_f16_e32 v81, 0x3be1, v87
	v_fma_f16 v86, v35, 0xb924, -v86
	v_fmac_f16_e32 v34, 0x3579, v84
	v_sub_f16_sdwa v79, v79, v85 dst_sel:DWORD dst_unused:UNUSED_PAD src0_sel:DWORD src1_sel:WORD_1
	v_fmac_f16_e32 v37, 0x3579, v87
	v_fma_f16 v81, v82, 0xb924, -v81
	v_pk_add_f16 v82, v84, v32
	v_add_f16_e32 v84, v83, v86
	v_sub_f16_e32 v78, v80, v85
	v_sub_f16_sdwa v75, v75, v85 dst_sel:DWORD dst_unused:UNUSED_PAD src0_sel:DWORD src1_sel:WORD_1
	v_add_f16_sdwa v74, v83, v81 dst_sel:DWORD dst_unused:UNUSED_PAD src0_sel:WORD_1 src1_sel:DWORD
	v_pk_add_f16 v35, v82, v35 neg_lo:[0,1] neg_hi:[0,1]
	v_pk_fma_f16 v31, v33, 0.5, v31 op_sel_hi:[1,0,1] neg_lo:[1,0,0] neg_hi:[1,0,0]
	v_fmac_f16_e32 v79, 0xbb84, v88
	v_sub_f16_e32 v71, v71, v37
	v_fmac_f16_e32 v84, 0x3579, v32
	v_pk_mul_f16 v35, 0x3aee, v35 op_sel_hi:[0,1]
	v_fmac_f16_e32 v74, 0x3579, v77
	v_fmac_f16_e32 v78, 0xbb84, v72
	;; [unrolled: 1-line block ×3, first 2 shown]
	v_pk_add_f16 v87, v73, v36 op_sel:[0,1] op_sel_hi:[1,0] neg_lo:[0,1] neg_hi:[0,1]
	v_pk_add_f16 v73, v73, v36 op_sel:[0,1] op_sel_hi:[1,0]
	v_pk_add_f16 v32, v31, v35 op_sel:[0,1] op_sel_hi:[1,0] neg_lo:[0,1] neg_hi:[0,1]
	v_pk_add_f16 v31, v31, v35 op_sel:[0,1] op_sel_hi:[1,0]
	v_add_f16_e32 v79, v34, v79
	v_fma_f16 v33, 2.0, v37, v71
	v_sub_f16_e32 v37, v78, v74
	v_add_f16_e32 v72, v84, v75
	v_bfi_b32 v73, 0xffff, v87, v73
	v_bfi_b32 v31, 0xffff, v32, v31
	v_fma_f16 v32, -2.0, v34, v79
	v_fma_f16 v34, 2.0, v74, v37
	v_fma_f16 v74, -2.0, v84, v72
	v_pk_fma_f16 v75, v36, 2.0, v73 op_sel:[1,0,0] op_sel_hi:[0,0,1]
	v_pk_fma_f16 v76, v35, 2.0, v31 op_sel:[1,0,0] op_sel_hi:[0,0,1]
	v_pk_fma_f16 v35, v35, 2.0, v31 op_sel:[1,0,0] op_sel_hi:[0,0,1] neg_lo:[1,0,0] neg_hi:[1,0,0]
	v_pk_fma_f16 v36, v36, 2.0, v73 op_sel:[1,0,0] op_sel_hi:[0,0,1] neg_lo:[1,0,0] neg_hi:[1,0,0]
	v_pack_b32_f16 v71, v71, v79
	v_pack_b32_f16 v37, v37, v72
	;; [unrolled: 1-line block ×3, first 2 shown]
	v_bfi_b32 v35, 0xffff, v76, v35
	v_bfi_b32 v36, 0xffff, v75, v36
	v_pack_b32_f16 v32, v33, v32
	s_barrier
	buffer_gl0_inv
	ds_write2_b32 v57, v38, v71 offset1:1
	ds_write2_b32 v57, v73, v31 offset0:2 offset1:3
	ds_write2_b32 v57, v37, v34 offset0:4 offset1:5
	;; [unrolled: 1-line block ×3, first 2 shown]
	ds_write_b32 v57, v32 offset:32
	s_and_saveexec_b32 s0, vcc_lo
	s_cbranch_execz .LBB0_13
; %bb.12:
	v_add_f16_e32 v32, v18, v29
	v_sub_f16_e32 v33, v69, v55
	v_add_f16_e32 v57, v17, v30
	v_add_f16_e32 v71, v50, v28
	v_sub_f16_e32 v18, v29, v18
	v_sub_f16_e32 v29, v19, v20
	v_add_f16_e32 v55, v55, v69
	v_sub_f16_e32 v17, v30, v17
	v_add_f16_e32 v30, v51, v70
	v_sub_f16_e32 v31, v67, v52
	v_sub_f16_e32 v37, v70, v51
	;; [unrolled: 1-line block ×3, first 2 shown]
	v_mul_f16_e32 v72, 0x3be1, v29
	v_add_f16_e32 v54, v54, v68
	v_add_f16_e32 v68, v55, v30
	;; [unrolled: 1-line block ×4, first 2 shown]
	v_mul_f16_e32 v35, 0x3be1, v31
	v_fma_f16 v51, v18, 0xb924, -v72
	v_sub_f16_e32 v28, v28, v50
	v_add_f16_e32 v50, v54, v68
	v_add_f16_e32 v72, v57, v70
	;; [unrolled: 1-line block ×3, first 2 shown]
	v_fma_f16 v35, v33, 0xb924, -v35
	v_add_f16_e32 v70, v34, v70
	v_add_f16_e32 v50, v67, v50
	v_add_f16_e32 v19, v19, v72
	v_add_f16_e32 v67, v57, v27
	v_add_f16_e32 v72, v31, v37
	v_add_f16_e32 v75, v54, v66
	v_add_f16_e32 v68, v69, v68
	v_fmac_f16_e32 v35, 0x3aee, v38
	v_fmac_f16_e32 v51, 0x3aee, v17
	v_add_f16_e32 v50, v52, v50
	v_add_f16_e32 v19, v20, v19
	v_sub_f16_e32 v20, v72, v33
	v_fmac_f16_e32 v67, -0.5, v70
	v_mul_f16_e32 v70, 0xb924, v31
	v_mul_f16_e32 v74, 0xb924, v29
	v_fmamk_f16 v36, v32, 0x3a21, v27
	v_fmamk_f16 v73, v55, 0x3a21, v66
	;; [unrolled: 1-line block ×3, first 2 shown]
	v_fmac_f16_e32 v75, -0.5, v68
	v_fmamk_f16 v68, v69, 0x3a21, v66
	v_fmac_f16_e32 v35, 0x3579, v37
	v_fmac_f16_e32 v51, 0x3579, v28
	v_add_f16_e32 v50, v66, v50
	v_add_f16_e32 v19, v27, v19
	v_mul_f16_e32 v52, 0x3aee, v20
	v_fmac_f16_e32 v67, 0xbaee, v20
	v_add_f16_e32 v20, v29, v28
	v_fmac_f16_e32 v70, 0x3be1, v37
	v_fmac_f16_e32 v74, 0x3be1, v28
	;; [unrolled: 1-line block ×3, first 2 shown]
	v_mul_f16_e32 v37, 0x3924, v37
	v_mul_f16_e32 v28, 0x3924, v28
	v_fmac_f16_e32 v66, 0x3a21, v30
	v_fmac_f16_e32 v36, 0x318f, v34
	;; [unrolled: 1-line block ×9, first 2 shown]
	v_fmac_f16_e32 v36, -0.5, v57
	v_fmac_f16_e32 v73, -0.5, v54
	v_fmac_f16_e32 v70, 0xbaee, v38
	v_fmac_f16_e32 v72, -0.5, v57
	v_fmac_f16_e32 v74, 0xbaee, v17
	v_fmac_f16_e32 v68, -0.5, v54
	v_fmac_f16_e32 v27, -0.5, v57
	v_fmac_f16_e32 v37, 0x3aee, v38
	v_fmac_f16_e32 v28, 0x3aee, v17
	v_fmac_f16_e32 v66, -0.5, v54
	v_fmac_f16_e32 v36, 0xbb84, v71
	v_fmac_f16_e32 v73, 0xbb84, v30
	v_sub_f16_e32 v20, v20, v18
	v_fmac_f16_e32 v70, 0x3579, v33
	v_fmac_f16_e32 v72, 0xbb84, v32
	;; [unrolled: 1-line block ×8, first 2 shown]
	v_sub_f16_e32 v36, v36, v35
	v_add_f16_e32 v73, v51, v73
	v_mul_f16_e32 v76, 0x3aee, v20
	v_fmac_f16_e32 v75, 0x3aee, v20
	v_sub_f16_e32 v17, v72, v70
	v_add_f16_e32 v18, v74, v68
	v_sub_f16_e32 v20, v27, v37
	v_add_f16_e32 v27, v28, v66
	v_fma_f16 v35, 2.0, v35, v36
	v_fma_f16 v51, -2.0, v51, v73
	v_fma_f16 v52, 2.0, v52, v67
	v_fma_f16 v29, -2.0, v76, v75
	;; [unrolled: 2-line block ×4, first 2 shown]
	v_lshlrev_b32_e32 v33, 2, v53
	v_pack_b32_f16 v20, v20, v27
	v_pack_b32_f16 v19, v19, v50
	;; [unrolled: 1-line block ×9, first 2 shown]
	ds_write2_b32 v33, v19, v20 offset1:1
	ds_write2_b32 v33, v17, v27 offset0:2 offset1:3
	ds_write2_b32 v33, v18, v34 offset0:4 offset1:5
	;; [unrolled: 1-line block ×3, first 2 shown]
	ds_write_b32 v33, v28 offset:32
.LBB0_13:
	s_or_b32 exec_lo, exec_lo, s0
	s_waitcnt lgkmcnt(0)
	s_barrier
	buffer_gl0_inv
	ds_read2_b32 v[28:29], v39 offset0:126 offset1:189
	v_add_nc_u32_e32 v20, 0x200, v39
	v_add_nc_u32_e32 v19, 0x400, v39
	v_add_nc_u32_e32 v18, 0x600, v39
	v_add_nc_u32_e32 v17, 0x800, v39
	v_add_nc_u32_e32 v27, 0xa00, v39
	ds_read2_b32 v[30:31], v20 offset0:124 offset1:187
	ds_read2_b32 v[32:33], v19 offset0:122 offset1:185
	;; [unrolled: 1-line block ×5, first 2 shown]
	ds_read2_b32 v[52:53], v39 offset1:63
	s_waitcnt lgkmcnt(0)
	s_barrier
	buffer_gl0_inv
	s_mov_b32 s12, 0x5bb804a5
	s_mov_b32 s13, 0x3f529372
	v_lshrrev_b32_e32 v38, 16, v28
	v_lshrrev_b32_e32 v57, 16, v30
	v_mul_f16_sdwa v55, v4, v28 dst_sel:DWORD dst_unused:UNUSED_PAD src0_sel:WORD_1 src1_sel:DWORD
	v_lshrrev_b32_e32 v66, 16, v32
	v_lshrrev_b32_e32 v67, 16, v34
	;; [unrolled: 1-line block ×3, first 2 shown]
	v_mul_f16_sdwa v74, v4, v38 dst_sel:DWORD dst_unused:UNUSED_PAD src0_sel:WORD_1 src1_sel:DWORD
	v_mul_f16_sdwa v75, v5, v30 dst_sel:DWORD dst_unused:UNUSED_PAD src0_sel:WORD_1 src1_sel:DWORD
	;; [unrolled: 1-line block ×3, first 2 shown]
	v_lshrrev_b32_e32 v54, 16, v29
	v_lshrrev_b32_e32 v69, 16, v50
	v_fma_f16 v38, v4, v38, -v55
	v_fmac_f16_e32 v74, v4, v28
	v_fma_f16 v4, v5, v57, -v75
	v_mul_f16_sdwa v28, v6, v66 dst_sel:DWORD dst_unused:UNUSED_PAD src0_sel:WORD_1 src1_sel:DWORD
	v_fmac_f16_e32 v77, v5, v30
	v_mul_f16_sdwa v5, v6, v32 dst_sel:DWORD dst_unused:UNUSED_PAD src0_sel:WORD_1 src1_sel:DWORD
	v_mul_f16_sdwa v30, v7, v67 dst_sel:DWORD dst_unused:UNUSED_PAD src0_sel:WORD_1 src1_sel:DWORD
	;; [unrolled: 1-line block ×4, first 2 shown]
	v_lshrrev_b32_e32 v70, 16, v31
	v_lshrrev_b32_e32 v71, 16, v33
	v_fmac_f16_e32 v28, v6, v32
	v_fma_f16 v5, v6, v66, -v5
	v_fmac_f16_e32 v30, v7, v34
	v_fma_f16 v6, v7, v67, -v55
	v_fmac_f16_e32 v57, v23, v36
	v_mul_f16_sdwa v7, v23, v36 dst_sel:DWORD dst_unused:UNUSED_PAD src0_sel:WORD_1 src1_sel:DWORD
	v_mul_f16_sdwa v32, v24, v69 dst_sel:DWORD dst_unused:UNUSED_PAD src0_sel:WORD_1 src1_sel:DWORD
	;; [unrolled: 1-line block ×4, first 2 shown]
	v_lshrrev_b32_e32 v72, 16, v35
	v_lshrrev_b32_e32 v73, 16, v37
	v_mul_f16_sdwa v55, v0, v29 dst_sel:DWORD dst_unused:UNUSED_PAD src0_sel:WORD_1 src1_sel:DWORD
	v_fma_f16 v7, v23, v68, -v7
	v_fmac_f16_e32 v32, v24, v50
	v_fma_f16 v23, v24, v69, -v34
	v_fmac_f16_e32 v36, v0, v29
	v_mul_f16_sdwa v24, v1, v70 dst_sel:DWORD dst_unused:UNUSED_PAD src0_sel:WORD_1 src1_sel:DWORD
	v_mul_f16_sdwa v29, v1, v31 dst_sel:DWORD dst_unused:UNUSED_PAD src0_sel:WORD_1 src1_sel:DWORD
	;; [unrolled: 1-line block ×3, first 2 shown]
	v_lshrrev_b32_e32 v76, 16, v51
	v_fma_f16 v0, v0, v54, -v55
	v_mul_f16_sdwa v50, v2, v33 dst_sel:DWORD dst_unused:UNUSED_PAD src0_sel:WORD_1 src1_sel:DWORD
	v_mul_f16_sdwa v54, v3, v72 dst_sel:DWORD dst_unused:UNUSED_PAD src0_sel:WORD_1 src1_sel:DWORD
	v_fmac_f16_e32 v24, v1, v31
	v_fma_f16 v1, v1, v70, -v29
	v_fmac_f16_e32 v34, v2, v33
	v_mul_f16_sdwa v29, v3, v35 dst_sel:DWORD dst_unused:UNUSED_PAD src0_sel:WORD_1 src1_sel:DWORD
	v_mul_f16_sdwa v31, v21, v73 dst_sel:DWORD dst_unused:UNUSED_PAD src0_sel:WORD_1 src1_sel:DWORD
	;; [unrolled: 1-line block ×3, first 2 shown]
	v_fma_f16 v2, v2, v71, -v50
	v_fmac_f16_e32 v54, v3, v35
	v_mul_f16_sdwa v35, v22, v76 dst_sel:DWORD dst_unused:UNUSED_PAD src0_sel:WORD_1 src1_sel:DWORD
	v_mul_f16_sdwa v50, v22, v51 dst_sel:DWORD dst_unused:UNUSED_PAD src0_sel:WORD_1 src1_sel:DWORD
	v_fma_f16 v3, v3, v72, -v29
	v_fmac_f16_e32 v31, v21, v37
	v_fma_f16 v21, v21, v73, -v33
	v_add_f16_e32 v29, v74, v32
	v_add_f16_e32 v33, v38, v23
	v_sub_f16_e32 v23, v38, v23
	v_add_f16_e32 v37, v77, v57
	v_add_f16_e32 v38, v4, v7
	v_fmac_f16_e32 v35, v22, v51
	v_fma_f16 v22, v22, v76, -v50
	v_sub_f16_e32 v32, v74, v32
	v_sub_f16_e32 v50, v77, v57
	;; [unrolled: 1-line block ×3, first 2 shown]
	v_add_f16_e32 v7, v28, v30
	v_add_f16_e32 v51, v5, v6
	v_sub_f16_e32 v28, v30, v28
	v_sub_f16_e32 v5, v6, v5
	v_add_f16_e32 v6, v37, v29
	v_add_f16_e32 v30, v38, v33
	v_sub_f16_e32 v55, v37, v29
	v_sub_f16_e32 v57, v38, v33
	;; [unrolled: 1-line block ×6, first 2 shown]
	v_add_f16_e32 v66, v28, v50
	v_add_f16_e32 v67, v5, v4
	v_sub_f16_e32 v68, v28, v50
	v_sub_f16_e32 v69, v5, v4
	;; [unrolled: 1-line block ×3, first 2 shown]
	v_add_f16_e32 v6, v7, v6
	v_add_f16_e32 v7, v51, v30
	v_sub_f16_e32 v4, v4, v23
	v_sub_f16_e32 v28, v32, v28
	;; [unrolled: 1-line block ×3, first 2 shown]
	v_add_f16_e32 v30, v66, v32
	v_add_f16_e32 v23, v67, v23
	;; [unrolled: 1-line block ×3, first 2 shown]
	v_add_f16_sdwa v51, v52, v7 dst_sel:DWORD dst_unused:UNUSED_PAD src0_sel:WORD_1 src1_sel:DWORD
	v_mul_f16_e32 v29, 0x3a52, v29
	v_mul_f16_e32 v33, 0x3a52, v33
	;; [unrolled: 1-line block ×8, first 2 shown]
	v_fmamk_f16 v6, v6, 0xbcab, v32
	v_fmamk_f16 v7, v7, 0xbcab, v51
	;; [unrolled: 1-line block ×4, first 2 shown]
	v_fma_f16 v52, v55, 0x39e0, -v52
	v_fma_f16 v66, v57, 0x39e0, -v66
	;; [unrolled: 1-line block ×4, first 2 shown]
	v_fmamk_f16 v55, v28, 0xb574, v67
	v_fmamk_f16 v57, v5, 0xb574, v68
	v_fma_f16 v28, v28, 0x3574, -v69
	v_fma_f16 v5, v5, 0x3574, -v70
	;; [unrolled: 1-line block ×4, first 2 shown]
	v_add_f16_e32 v37, v37, v6
	v_add_f16_e32 v38, v38, v7
	;; [unrolled: 1-line block ×6, first 2 shown]
	v_fmac_f16_e32 v55, 0xb70e, v30
	v_fmac_f16_e32 v57, 0xb70e, v23
	;; [unrolled: 1-line block ×6, first 2 shown]
	v_add_f16_e32 v23, v57, v37
	v_sub_f16_e32 v29, v38, v55
	v_add_f16_e32 v30, v5, v6
	v_sub_f16_e32 v33, v7, v28
	v_sub_f16_e32 v5, v6, v5
	v_add_f16_e32 v6, v28, v7
	v_sub_f16_e32 v7, v37, v57
	v_add_f16_e32 v28, v55, v38
	v_add_f16_e32 v37, v36, v35
	;; [unrolled: 1-line block ×3, first 2 shown]
	v_sub_f16_e32 v35, v36, v35
	v_sub_f16_e32 v0, v0, v22
	v_add_f16_e32 v22, v24, v31
	v_add_f16_e32 v36, v1, v21
	v_sub_f16_e32 v67, v52, v4
	v_add_f16_e32 v4, v4, v52
	v_sub_f16_e32 v24, v24, v31
	v_sub_f16_e32 v1, v1, v21
	v_add_f16_e32 v21, v34, v54
	v_add_f16_e32 v31, v2, v3
	v_sub_f16_e32 v34, v54, v34
	v_sub_f16_e32 v2, v3, v2
	v_add_f16_e32 v3, v22, v37
	v_add_f16_e32 v52, v36, v38
	;; [unrolled: 1-line block ×3, first 2 shown]
	v_sub_f16_e32 v50, v66, v50
	v_sub_f16_e32 v54, v22, v37
	;; [unrolled: 1-line block ×7, first 2 shown]
	v_add_f16_e32 v57, v34, v24
	v_add_f16_e32 v66, v2, v1
	v_sub_f16_e32 v69, v34, v24
	v_sub_f16_e32 v70, v2, v1
	v_add_f16_e32 v3, v21, v3
	v_add_f16_e32 v21, v31, v52
	v_sub_f16_e32 v24, v24, v35
	v_sub_f16_e32 v1, v1, v0
	;; [unrolled: 1-line block ×4, first 2 shown]
	v_add_f16_e32 v31, v57, v35
	v_add_f16_e32 v0, v66, v0
	;; [unrolled: 1-line block ×3, first 2 shown]
	v_add_f16_sdwa v52, v53, v21 dst_sel:DWORD dst_unused:UNUSED_PAD src0_sel:WORD_1 src1_sel:DWORD
	v_mul_f16_e32 v37, 0x3a52, v37
	v_mul_f16_e32 v38, 0x3a52, v38
	;; [unrolled: 1-line block ×8, first 2 shown]
	v_fmamk_f16 v3, v3, 0xbcab, v35
	v_fmamk_f16 v21, v21, 0xbcab, v52
	;; [unrolled: 1-line block ×4, first 2 shown]
	v_fma_f16 v53, v54, 0x39e0, -v53
	v_fma_f16 v57, v55, 0x39e0, -v57
	v_fma_f16 v37, v54, 0xb9e0, -v37
	v_fma_f16 v38, v55, 0xb9e0, -v38
	v_fmamk_f16 v54, v34, 0xb574, v66
	v_fmamk_f16 v55, v2, 0xb574, v69
	v_fma_f16 v24, v24, 0xbb00, -v66
	v_fma_f16 v1, v1, 0xbb00, -v69
	;; [unrolled: 1-line block ×4, first 2 shown]
	v_add_f16_e32 v22, v22, v3
	v_add_f16_e32 v36, v36, v21
	v_fmac_f16_e32 v54, 0xb70e, v31
	v_fmac_f16_e32 v55, 0xb70e, v0
	v_add_f16_e32 v53, v53, v3
	v_add_f16_e32 v57, v57, v21
	;; [unrolled: 1-line block ×4, first 2 shown]
	v_fmac_f16_e32 v24, 0xb70e, v31
	v_fmac_f16_e32 v2, 0xb70e, v0
	;; [unrolled: 1-line block ×4, first 2 shown]
	v_pack_b32_f16 v32, v32, v51
	v_pack_b32_f16 v23, v23, v29
	v_add_f16_e32 v0, v55, v22
	v_sub_f16_e32 v31, v36, v54
	v_pack_b32_f16 v29, v30, v33
	v_pack_b32_f16 v30, v67, v68
	v_add_f16_e32 v37, v2, v3
	v_sub_f16_e32 v38, v21, v34
	v_sub_f16_e32 v66, v53, v1
	v_add_f16_e32 v69, v24, v57
	v_pack_b32_f16 v4, v4, v50
	v_pack_b32_f16 v5, v5, v6
	v_add_f16_e32 v1, v1, v53
	v_sub_f16_e32 v24, v57, v24
	v_sub_f16_e32 v2, v3, v2
	v_add_f16_e32 v3, v34, v21
	v_sub_f16_e32 v21, v22, v55
	v_add_f16_e32 v22, v54, v36
	ds_write2_b32 v58, v32, v23 offset1:9
	ds_write2_b32 v58, v29, v30 offset0:18 offset1:27
	ds_write2_b32 v58, v4, v5 offset0:36 offset1:45
	v_pack_b32_f16 v4, v7, v28
	v_pack_b32_f16 v5, v35, v52
	;; [unrolled: 1-line block ×8, first 2 shown]
	ds_write_b32 v58, v4 offset:216
	ds_write2_b32 v56, v5, v0 offset1:9
	ds_write2_b32 v56, v6, v7 offset0:18 offset1:27
	ds_write2_b32 v56, v1, v2 offset0:36 offset1:45
	ds_write_b32 v56, v3 offset:216
	s_waitcnt lgkmcnt(0)
	s_barrier
	buffer_gl0_inv
	ds_read2_b32 v[0:1], v39 offset0:126 offset1:189
	ds_read2_b32 v[2:3], v20 offset0:124 offset1:187
	;; [unrolled: 1-line block ×6, first 2 shown]
	ds_read2_b32 v[28:29], v39 offset1:63
	s_waitcnt lgkmcnt(0)
	s_barrier
	buffer_gl0_inv
	v_lshrrev_b32_e32 v30, 16, v0
	v_lshrrev_b32_e32 v31, 16, v2
	;; [unrolled: 1-line block ×5, first 2 shown]
	v_mul_f16_sdwa v52, v8, v30 dst_sel:DWORD dst_unused:UNUSED_PAD src0_sel:WORD_1 src1_sel:DWORD
	v_mul_f16_sdwa v53, v8, v0 dst_sel:DWORD dst_unused:UNUSED_PAD src0_sel:WORD_1 src1_sel:DWORD
	;; [unrolled: 1-line block ×4, first 2 shown]
	v_lshrrev_b32_e32 v35, 16, v23
	v_lshrrev_b32_e32 v36, 16, v1
	v_fmac_f16_e32 v52, v8, v0
	v_fma_f16 v0, v8, v30, -v53
	v_fmac_f16_e32 v54, v9, v2
	v_fma_f16 v2, v9, v31, -v55
	v_mul_f16_sdwa v30, v10, v32 dst_sel:DWORD dst_unused:UNUSED_PAD src0_sel:WORD_1 src1_sel:DWORD
	v_mul_f16_sdwa v31, v10, v4 dst_sel:DWORD dst_unused:UNUSED_PAD src0_sel:WORD_1 src1_sel:DWORD
	;; [unrolled: 1-line block ×5, first 2 shown]
	v_lshrrev_b32_e32 v37, 16, v3
	v_lshrrev_b32_e32 v38, 16, v5
	;; [unrolled: 1-line block ×3, first 2 shown]
	v_fmac_f16_e32 v30, v10, v4
	v_fma_f16 v4, v10, v32, -v31
	v_fmac_f16_e32 v53, v11, v6
	v_fma_f16 v6, v11, v33, -v55
	v_fmac_f16_e32 v57, v25, v21
	v_mul_f16_sdwa v21, v25, v21 dst_sel:DWORD dst_unused:UNUSED_PAD src0_sel:WORD_1 src1_sel:DWORD
	v_mul_f16_sdwa v31, v26, v35 dst_sel:DWORD dst_unused:UNUSED_PAD src0_sel:WORD_1 src1_sel:DWORD
	;; [unrolled: 1-line block ×5, first 2 shown]
	v_lshrrev_b32_e32 v51, 16, v22
	v_lshrrev_b32_e32 v56, 16, v24
	v_fma_f16 v21, v25, v34, -v21
	v_fmac_f16_e32 v31, v26, v23
	v_fma_f16 v23, v26, v35, -v32
	v_fmac_f16_e32 v33, v8, v1
	v_fma_f16 v1, v8, v36, -v55
	v_mul_f16_sdwa v8, v9, v37 dst_sel:DWORD dst_unused:UNUSED_PAD src0_sel:WORD_1 src1_sel:DWORD
	v_mul_f16_sdwa v32, v9, v3 dst_sel:DWORD dst_unused:UNUSED_PAD src0_sel:WORD_1 src1_sel:DWORD
	;; [unrolled: 1-line block ×5, first 2 shown]
	v_fmac_f16_e32 v8, v9, v3
	v_fma_f16 v3, v9, v37, -v32
	v_fmac_f16_e32 v34, v10, v5
	v_fma_f16 v5, v10, v38, -v35
	v_fmac_f16_e32 v36, v11, v7
	v_mul_f16_sdwa v7, v11, v7 dst_sel:DWORD dst_unused:UNUSED_PAD src0_sel:WORD_1 src1_sel:DWORD
	v_mul_f16_sdwa v9, v25, v51 dst_sel:DWORD dst_unused:UNUSED_PAD src0_sel:WORD_1 src1_sel:DWORD
	;; [unrolled: 1-line block ×5, first 2 shown]
	v_fma_f16 v7, v11, v50, -v7
	v_fmac_f16_e32 v9, v25, v22
	v_fmac_f16_e32 v32, v26, v24
	v_fma_f16 v11, v26, v56, -v35
	v_add_f16_e32 v22, v52, v31
	v_add_f16_e32 v24, v0, v23
	v_sub_f16_e32 v0, v0, v23
	v_add_f16_e32 v23, v54, v57
	v_add_f16_e32 v26, v2, v21
	v_fma_f16 v10, v25, v51, -v10
	v_sub_f16_e32 v25, v52, v31
	v_sub_f16_e32 v31, v54, v57
	;; [unrolled: 1-line block ×3, first 2 shown]
	v_add_f16_e32 v21, v30, v53
	v_add_f16_e32 v35, v4, v6
	v_sub_f16_e32 v30, v53, v30
	v_sub_f16_e32 v4, v6, v4
	v_add_f16_e32 v6, v23, v22
	v_add_f16_e32 v37, v26, v24
	v_sub_f16_e32 v38, v23, v22
	v_sub_f16_e32 v50, v26, v24
	;; [unrolled: 1-line block ×6, first 2 shown]
	v_add_f16_e32 v51, v30, v31
	v_add_f16_e32 v52, v4, v2
	v_sub_f16_e32 v53, v30, v31
	v_sub_f16_e32 v54, v4, v2
	;; [unrolled: 1-line block ×3, first 2 shown]
	v_add_f16_e32 v6, v21, v6
	v_add_f16_e32 v21, v35, v37
	v_sub_f16_e32 v2, v2, v0
	v_sub_f16_e32 v30, v25, v30
	;; [unrolled: 1-line block ×3, first 2 shown]
	v_add_f16_e32 v25, v51, v25
	v_add_f16_e32 v0, v52, v0
	;; [unrolled: 1-line block ×3, first 2 shown]
	v_add_f16_sdwa v28, v28, v21 dst_sel:DWORD dst_unused:UNUSED_PAD src0_sel:WORD_1 src1_sel:DWORD
	v_mul_f16_e32 v22, 0x3a52, v22
	v_mul_f16_e32 v24, 0x3a52, v24
	;; [unrolled: 1-line block ×8, first 2 shown]
	v_fmamk_f16 v6, v6, 0xbcab, v35
	v_fmamk_f16 v21, v21, 0xbcab, v28
	;; [unrolled: 1-line block ×4, first 2 shown]
	v_fma_f16 v37, v38, 0x39e0, -v37
	v_fma_f16 v51, v50, 0x39e0, -v51
	;; [unrolled: 1-line block ×4, first 2 shown]
	v_fmamk_f16 v38, v30, 0xb574, v52
	v_fmamk_f16 v50, v4, 0xb574, v53
	v_fma_f16 v30, v30, 0x3574, -v54
	v_fma_f16 v4, v4, 0x3574, -v55
	;; [unrolled: 1-line block ×4, first 2 shown]
	v_add_f16_e32 v23, v23, v6
	v_add_f16_e32 v26, v26, v21
	v_add_f16_e32 v37, v37, v6
	v_add_f16_e32 v51, v51, v21
	v_add_f16_e32 v6, v22, v6
	v_add_f16_e32 v21, v24, v21
	v_fmac_f16_e32 v38, 0xb70e, v25
	v_fmac_f16_e32 v50, 0xb70e, v0
	;; [unrolled: 1-line block ×6, first 2 shown]
	v_add_f16_e32 v0, v50, v23
	v_sub_f16_e32 v22, v26, v38
	v_add_f16_e32 v24, v4, v6
	v_sub_f16_e32 v25, v21, v30
	v_sub_f16_e32 v4, v6, v4
	v_add_f16_e32 v6, v30, v21
	v_sub_f16_e32 v21, v23, v50
	v_add_f16_e32 v23, v38, v26
	v_add_f16_e32 v26, v33, v32
	;; [unrolled: 1-line block ×3, first 2 shown]
	v_sub_f16_e32 v32, v33, v32
	v_sub_f16_e32 v1, v1, v11
	v_add_f16_e32 v11, v8, v9
	v_add_f16_e32 v33, v3, v10
	v_sub_f16_e32 v8, v8, v9
	v_sub_f16_e32 v3, v3, v10
	v_add_f16_e32 v9, v34, v36
	v_add_f16_e32 v10, v5, v7
	;; [unrolled: 4-line block ×3, first 2 shown]
	v_sub_f16_e32 v52, v37, v2
	v_add_f16_e32 v53, v31, v51
	v_add_f16_e32 v2, v2, v37
	v_sub_f16_e32 v31, v51, v31
	v_sub_f16_e32 v37, v11, v26
	;; [unrolled: 1-line block ×7, first 2 shown]
	v_add_f16_e32 v50, v34, v8
	v_add_f16_e32 v51, v5, v3
	v_sub_f16_e32 v54, v34, v8
	v_sub_f16_e32 v55, v5, v3
	;; [unrolled: 1-line block ×3, first 2 shown]
	v_add_f16_e32 v7, v9, v7
	v_add_f16_e32 v9, v10, v36
	v_sub_f16_e32 v3, v3, v1
	v_sub_f16_e32 v34, v32, v34
	;; [unrolled: 1-line block ×3, first 2 shown]
	v_add_f16_e32 v10, v50, v32
	v_add_f16_e32 v1, v51, v1
	;; [unrolled: 1-line block ×3, first 2 shown]
	v_add_f16_sdwa v29, v29, v9 dst_sel:DWORD dst_unused:UNUSED_PAD src0_sel:WORD_1 src1_sel:DWORD
	v_mul_f16_e32 v26, 0x3a52, v26
	v_mul_f16_e32 v30, 0x3a52, v30
	;; [unrolled: 1-line block ×8, first 2 shown]
	v_fmamk_f16 v7, v7, 0xbcab, v32
	v_fmamk_f16 v9, v9, 0xbcab, v29
	;; [unrolled: 1-line block ×4, first 2 shown]
	v_fma_f16 v36, v37, 0x39e0, -v36
	v_fma_f16 v50, v38, 0x39e0, -v50
	;; [unrolled: 1-line block ×4, first 2 shown]
	v_fmamk_f16 v37, v34, 0xb574, v51
	v_fmamk_f16 v38, v5, 0xb574, v54
	v_fma_f16 v34, v34, 0x3574, -v55
	v_fma_f16 v5, v5, 0x3574, -v56
	;; [unrolled: 1-line block ×4, first 2 shown]
	v_add_f16_e32 v11, v11, v7
	v_add_f16_e32 v33, v33, v9
	v_add_f16_e32 v36, v36, v7
	v_add_f16_e32 v50, v50, v9
	v_add_f16_e32 v7, v26, v7
	v_add_f16_e32 v9, v30, v9
	v_fmac_f16_e32 v37, 0xb70e, v10
	v_fmac_f16_e32 v38, 0xb70e, v1
	v_fmac_f16_e32 v5, 0xb70e, v1
	v_fmac_f16_e32 v34, 0xb70e, v10
	v_fmac_f16_e32 v8, 0xb70e, v10
	v_fmac_f16_e32 v3, 0xb70e, v1
	v_pack_b32_f16 v28, v35, v28
	v_pack_b32_f16 v0, v0, v22
	;; [unrolled: 1-line block ×4, first 2 shown]
	v_add_f16_e32 v1, v38, v11
	v_sub_f16_e32 v10, v33, v37
	v_add_f16_e32 v26, v5, v7
	v_sub_f16_e32 v30, v9, v34
	v_sub_f16_e32 v51, v36, v3
	v_add_f16_e32 v54, v8, v50
	v_add_f16_e32 v3, v3, v36
	v_sub_f16_e32 v8, v50, v8
	v_sub_f16_e32 v5, v7, v5
	v_add_f16_e32 v7, v34, v9
	v_sub_f16_e32 v9, v11, v38
	v_add_f16_e32 v11, v37, v33
	ds_write2_b32 v39, v28, v0 offset1:63
	ds_write2_b32 v39, v22, v24 offset0:126 offset1:189
	v_pack_b32_f16 v0, v2, v31
	v_pack_b32_f16 v2, v4, v6
	;; [unrolled: 1-line block ×10, first 2 shown]
	ds_write2_b32 v20, v0, v2 offset0:124 offset1:187
	ds_write2_b32 v19, v4, v6 offset0:122 offset1:185
	;; [unrolled: 1-line block ×5, first 2 shown]
	s_waitcnt lgkmcnt(0)
	s_barrier
	buffer_gl0_inv
	ds_read2_b32 v[0:1], v39 offset1:63
	ds_read2_b32 v[2:3], v19 offset0:122 offset1:185
	ds_read2_b32 v[4:5], v18 offset0:120 offset1:183
	;; [unrolled: 1-line block ×6, first 2 shown]
	s_waitcnt lgkmcnt(6)
	v_lshrrev_b32_e32 v23, 16, v0
	s_waitcnt lgkmcnt(5)
	v_lshrrev_b32_e32 v24, 16, v3
	;; [unrolled: 2-line block ×3, first 2 shown]
	v_lshrrev_b32_e32 v29, 16, v5
	s_waitcnt lgkmcnt(2)
	v_lshrrev_b32_e32 v31, 16, v8
	v_mul_f16_sdwa v37, v65, v3 dst_sel:DWORD dst_unused:UNUSED_PAD src0_sel:WORD_1 src1_sel:DWORD
	v_mul_f16_sdwa v35, v65, v24 dst_sel:DWORD dst_unused:UNUSED_PAD src0_sel:WORD_1 src1_sel:DWORD
	;; [unrolled: 1-line block ×4, first 2 shown]
	v_lshrrev_b32_e32 v33, 16, v9
	s_waitcnt lgkmcnt(0)
	v_lshrrev_b32_e32 v36, 16, v21
	v_fmac_f16_e32 v35, v65, v3
	v_mul_f16_sdwa v3, v63, v26 dst_sel:DWORD dst_unused:UNUSED_PAD src0_sel:WORD_1 src1_sel:DWORD
	v_fma_f16 v24, v65, v24, -v37
	v_mul_f16_sdwa v37, v63, v4 dst_sel:DWORD dst_unused:UNUSED_PAD src0_sel:WORD_1 src1_sel:DWORD
	v_fmac_f16_e32 v51, v64, v5
	v_fma_f16 v5, v64, v29, -v52
	v_fmac_f16_e32 v3, v63, v4
	v_mul_f16_sdwa v4, v60, v31 dst_sel:DWORD dst_unused:UNUSED_PAD src0_sel:WORD_1 src1_sel:DWORD
	v_mul_f16_sdwa v29, v60, v8 dst_sel:DWORD dst_unused:UNUSED_PAD src0_sel:WORD_1 src1_sel:DWORD
	v_lshrrev_b32_e32 v50, 16, v22
	v_fma_f16 v26, v63, v26, -v37
	v_mul_f16_sdwa v37, v61, v9 dst_sel:DWORD dst_unused:UNUSED_PAD src0_sel:WORD_1 src1_sel:DWORD
	v_fmac_f16_e32 v4, v60, v8
	v_mul_f16_sdwa v8, v61, v33 dst_sel:DWORD dst_unused:UNUSED_PAD src0_sel:WORD_1 src1_sel:DWORD
	v_mul_f16_sdwa v52, v62, v36 dst_sel:DWORD dst_unused:UNUSED_PAD src0_sel:WORD_1 src1_sel:DWORD
	v_lshrrev_b32_e32 v25, 16, v1
	v_fma_f16 v29, v60, v31, -v29
	v_mul_f16_sdwa v31, v62, v21 dst_sel:DWORD dst_unused:UNUSED_PAD src0_sel:WORD_1 src1_sel:DWORD
	v_fmac_f16_e32 v8, v61, v9
	v_fma_f16 v9, v61, v33, -v37
	v_fmac_f16_e32 v52, v62, v21
	v_mul_f16_sdwa v21, v59, v50 dst_sel:DWORD dst_unused:UNUSED_PAD src0_sel:WORD_1 src1_sel:DWORD
	v_mul_f16_sdwa v33, v59, v22 dst_sel:DWORD dst_unused:UNUSED_PAD src0_sel:WORD_1 src1_sel:DWORD
	v_lshrrev_b32_e32 v28, 16, v6
	v_lshrrev_b32_e32 v30, 16, v7
	v_sub_f16_e32 v35, v0, v35
	v_sub_f16_e32 v24, v23, v24
	;; [unrolled: 1-line block ×4, first 2 shown]
	v_lshrrev_b32_e32 v32, 16, v10
	v_lshrrev_b32_e32 v34, 16, v11
	v_fma_f16 v31, v62, v36, -v31
	v_lshrrev_b32_e32 v38, 16, v2
	v_fmac_f16_e32 v21, v59, v22
	v_fma_f16 v22, v59, v50, -v33
	v_fma_f16 v0, v0, 2.0, -v35
	v_fma_f16 v23, v23, 2.0, -v24
	;; [unrolled: 1-line block ×3, first 2 shown]
	v_sub_f16_e32 v33, v6, v51
	v_sub_f16_e32 v5, v28, v5
	v_sub_f16_e32 v4, v7, v4
	v_fma_f16 v25, v25, 2.0, -v26
	v_sub_f16_e32 v29, v30, v29
	v_sub_f16_e32 v8, v10, v8
	;; [unrolled: 1-line block ×7, first 2 shown]
	v_fma_f16 v6, v6, 2.0, -v33
	v_fma_f16 v28, v28, 2.0, -v5
	;; [unrolled: 1-line block ×4, first 2 shown]
	v_pack_b32_f16 v0, v0, v23
	v_pack_b32_f16 v1, v1, v25
	;; [unrolled: 1-line block ×4, first 2 shown]
	v_fma_f16 v10, v10, 2.0, -v8
	v_fma_f16 v32, v32, 2.0, -v9
	;; [unrolled: 1-line block ×6, first 2 shown]
	ds_write2_b32 v39, v0, v1 offset1:63
	v_pack_b32_f16 v0, v6, v28
	v_pack_b32_f16 v1, v7, v30
	ds_write2_b32 v18, v3, v5 offset0:120 offset1:183
	v_pack_b32_f16 v3, v4, v29
	v_pack_b32_f16 v5, v8, v9
	;; [unrolled: 1-line block ×8, first 2 shown]
	ds_write2_b32 v39, v0, v1 offset0:126 offset1:189
	ds_write2_b32 v17, v3, v5 offset0:118 offset1:181
	;; [unrolled: 1-line block ×5, first 2 shown]
	s_waitcnt lgkmcnt(0)
	s_barrier
	buffer_gl0_inv
	ds_read2_b32 v[0:1], v39 offset1:98
	s_waitcnt lgkmcnt(0)
	v_lshrrev_b32_e32 v4, 16, v0
	v_lshrrev_b32_e32 v21, 16, v1
	v_mul_f16_sdwa v2, v49, v4 dst_sel:DWORD dst_unused:UNUSED_PAD src0_sel:WORD_1 src1_sel:DWORD
	v_mul_f16_sdwa v6, v48, v21 dst_sel:DWORD dst_unused:UNUSED_PAD src0_sel:WORD_1 src1_sel:DWORD
	v_fmac_f16_e32 v2, v49, v0
	v_mul_f16_sdwa v0, v49, v0 dst_sel:DWORD dst_unused:UNUSED_PAD src0_sel:WORD_1 src1_sel:DWORD
	v_fmac_f16_e32 v6, v48, v1
	v_cvt_f32_f16_e32 v2, v2
	v_fma_f16 v0, v49, v4, -v0
	v_cvt_f32_f16_e32 v8, v6
	v_mad_u64_u32 v[6:7], null, s10, v16, 0
	v_cvt_f64_f32_e32 v[2:3], v2
	v_cvt_f32_f16_e32 v0, v0
	v_cvt_f64_f32_e32 v[8:9], v8
	v_cvt_f64_f32_e32 v[4:5], v0
	v_mul_f64 v[2:3], v[2:3], s[12:13]
	v_mul_f64 v[4:5], v[4:5], s[12:13]
	v_and_or_b32 v0, 0x1ff, v3, v2
	v_lshrrev_b32_e32 v2, 8, v3
	v_bfe_u32 v10, v3, 20, 11
	v_cmp_ne_u32_e64 s0, 0, v0
	v_and_or_b32 v4, 0x1ff, v5, v4
	v_lshrrev_b32_e32 v23, 8, v5
	v_bfe_u32 v24, v5, 20, 11
	v_add_nc_u32_e32 v25, 0xfffffc10, v10
	v_cndmask_b32_e64 v0, 0, 1, s0
	v_cmp_ne_u32_e64 s0, 0, v4
	v_lshrrev_b32_e32 v5, 16, v5
	v_and_or_b32 v2, 0xffe, v2, v0
	v_sub_nc_u32_e32 v0, 0x3f1, v10
	v_cndmask_b32_e64 v4, 0, 1, s0
	v_or_b32_e32 v11, 0x1000, v2
	v_med3_i32 v0, v0, 0, 13
	v_and_or_b32 v4, 0xffe, v23, v4
	v_sub_nc_u32_e32 v23, 0x3f1, v24
	v_add_nc_u32_e32 v24, 0xfffffc10, v24
	v_lshrrev_b32_e32 v22, v0, v11
	v_or_b32_e32 v26, 0x1000, v4
	v_med3_i32 v10, v23, 0, 13
	v_cmp_gt_i32_e64 s2, 1, v24
	v_lshlrev_b32_e32 v0, v0, v22
	v_lshrrev_b32_e32 v23, v10, v26
	v_cmp_ne_u32_e64 s0, v0, v11
	v_cndmask_b32_e64 v0, 0, 1, s0
	v_cmp_gt_i32_e64 s0, 1, v25
	v_or_b32_e32 v11, v22, v0
	v_lshl_or_b32 v22, v25, 12, v2
	v_mov_b32_e32 v0, v7
	v_lshlrev_b32_e32 v7, v10, v23
	v_cndmask_b32_e64 v22, v22, v11, s0
	v_mad_u64_u32 v[10:11], null, s11, v16, v[0:1]
	v_mul_f16_sdwa v16, v48, v1 dst_sel:DWORD dst_unused:UNUSED_PAD src0_sel:WORD_1 src1_sel:DWORD
	v_cmp_ne_u32_e64 s0, v7, v26
	v_mul_f64 v[0:1], v[8:9], s[12:13]
	v_and_b32_e32 v11, 7, v22
	v_fma_f16 v9, v48, v21, -v16
	v_cndmask_b32_e64 v8, 0, 1, s0
	v_mov_b32_e32 v7, v10
	v_lshl_or_b32 v10, v24, 12, v4
	v_cmp_lt_i32_e64 s0, 5, v11
	v_cvt_f32_f16_e32 v9, v9
	v_or_b32_e32 v8, v23, v8
	v_cmp_eq_u32_e64 s1, 3, v11
	v_lshrrev_b32_e32 v11, 2, v22
	v_cndmask_b32_e64 v10, v10, v8, s2
	v_cvt_f64_f32_e32 v[8:9], v9
	s_or_b32 s0, s1, s0
	v_add_co_ci_u32_e64 v11, s0, 0, v11, s0
	v_cmp_ne_u32_e64 s0, 0, v2
	v_and_b32_e32 v16, 7, v10
	v_and_or_b32 v0, 0x1ff, v1, v0
	v_lshrrev_b32_e32 v10, 2, v10
	v_cndmask_b32_e64 v2, 0, 1, s0
	v_cmp_gt_i32_e64 s0, 31, v25
	v_cmp_ne_u32_e64 s2, 0, v0
	v_cmp_eq_u32_e64 s1, 3, v16
	v_lshl_or_b32 v2, v2, 9, 0x7c00
	v_cndmask_b32_e64 v22, 0x7c00, v11, s0
	v_cmp_lt_i32_e64 s0, 5, v16
	v_cndmask_b32_e64 v0, 0, 1, s2
	v_lshrrev_b32_e32 v11, 8, v1
	v_bfe_u32 v16, v1, 20, 11
	s_or_b32 s0, s1, s0
	v_mul_f64 v[8:9], v[8:9], s[12:13]
	v_add_co_ci_u32_e64 v21, s0, 0, v10, s0
	v_and_or_b32 v23, 0xffe, v11, v0
	ds_read2_b32 v[10:11], v20 offset0:68 offset1:166
	v_cmp_ne_u32_e64 s0, 0, v4
	v_sub_nc_u32_e32 v0, 0x3f1, v16
	v_add_nc_u32_e32 v16, 0xfffffc10, v16
	v_or_b32_e32 v26, 0x1000, v23
	v_cndmask_b32_e64 v4, 0, 1, s0
	v_cmp_gt_i32_e64 s0, 31, v24
	v_med3_i32 v0, v0, 0, 13
	v_lshl_or_b32 v4, v4, 9, 0x7c00
	v_cndmask_b32_e64 v27, 0x7c00, v21, s0
	v_cmp_eq_u32_e64 s0, 0x40f, v25
	v_lshrrev_b32_e32 v28, v0, v26
	v_mad_u64_u32 v[20:21], null, s8, v46, 0
	v_lshrrev_b32_e32 v25, 16, v3
	v_cndmask_b32_e64 v22, v22, v2, s0
	v_cmp_eq_u32_e64 s0, 0x40f, v24
	v_lshlrev_b32_e32 v2, v0, v28
	v_and_or_b32 v8, 0x1ff, v9, v8
	v_mov_b32_e32 v0, v21
	v_cndmask_b32_e64 v24, v27, v4, s0
	s_waitcnt lgkmcnt(0)
	v_lshrrev_b32_e32 v27, 16, v10
	v_cmp_ne_u32_e64 s0, v2, v26
	v_bfe_u32 v26, v9, 20, 11
	v_mad_u64_u32 v[2:3], null, s9, v46, v[0:1]
	v_mul_f16_sdwa v21, v47, v27 dst_sel:DWORD dst_unused:UNUSED_PAD src0_sel:WORD_1 src1_sel:DWORD
	v_cndmask_b32_e64 v4, 0, 1, s0
	v_cmp_ne_u32_e64 s0, 0, v8
	v_lshrrev_b32_e32 v8, 8, v9
	v_lshl_or_b32 v3, v16, 12, v23
	v_fmac_f16_e32 v21, v47, v10
	v_or_b32_e32 v0, v28, v4
	v_cndmask_b32_e64 v4, 0, 1, s0
	v_cmp_gt_i32_e64 s0, 1, v16
	v_and_or_b32 v5, 0x8000, v5, v24
	v_cvt_f32_f16_e32 v21, v21
	v_and_or_b32 v28, 0xffe, v8, v4
	v_sub_nc_u32_e32 v8, 0x3f1, v26
	v_cndmask_b32_e64 v0, v3, v0, s0
	v_cvt_f64_f32_e32 v[3:4], v21
	v_and_or_b32 v21, 0x8000, v25, v22
	v_or_b32_e32 v25, 0x1000, v28
	v_med3_i32 v8, v8, 0, 13
	v_and_b32_e32 v22, 7, v0
	v_lshrrev_b32_e32 v0, 2, v0
	v_and_b32_e32 v24, 0xffff, v21
	v_mov_b32_e32 v21, v2
	v_lshrrev_b32_e32 v29, v8, v25
	v_cmp_lt_i32_e64 s0, 5, v22
	v_cmp_eq_u32_e64 s1, 3, v22
	v_lshl_or_b32 v22, v5, 16, v24
	v_lshlrev_b64 v[5:6], 2, v[6:7]
	v_lshlrev_b32_e32 v2, v8, v29
	v_mul_f16_sdwa v7, v47, v10 dst_sel:DWORD dst_unused:UNUSED_PAD src0_sel:WORD_1 src1_sel:DWORD
	s_or_b32 s0, s1, s0
	v_add_nc_u32_e32 v10, 0xfffffc10, v26
	v_add_co_ci_u32_e64 v0, s0, 0, v0, s0
	v_cmp_ne_u32_e64 s0, v2, v25
	v_mul_f64 v[2:3], v[3:4], s[12:13]
	v_fma_f16 v4, v47, v27, -v7
	v_cndmask_b32_e64 v8, 0, 1, s0
	v_cmp_ne_u32_e64 s0, 0, v23
	v_lshl_or_b32 v23, v10, 12, v28
	v_lshrrev_b32_e32 v27, 16, v11
	v_cvt_f32_f16_e32 v4, v4
	v_or_b32_e32 v8, v29, v8
	v_cndmask_b32_e64 v7, 0, 1, s0
	v_cmp_gt_i32_e64 s0, 31, v16
	v_lshl_or_b32 v24, v7, 9, 0x7c00
	v_cndmask_b32_e64 v0, 0x7c00, v0, s0
	v_cmp_gt_i32_e64 s0, 1, v10
	v_cndmask_b32_e64 v23, v23, v8, s0
	v_add_co_u32 v25, s0, s6, v5
	v_cvt_f64_f32_e32 v[7:8], v4
	v_add_co_ci_u32_e64 v6, s0, s7, v6, s0
	v_cmp_eq_u32_e64 s0, 0x40f, v16
	v_lshlrev_b64 v[4:5], 2, v[20:21]
	v_and_b32_e32 v20, 7, v23
	v_bfe_u32 v21, v3, 20, 11
	v_cndmask_b32_e64 v16, v0, v24, s0
	v_and_or_b32 v0, 0x1ff, v3, v2
	v_cmp_lt_i32_e64 s0, 5, v20
	v_cmp_eq_u32_e64 s1, 3, v20
	v_lshrrev_b32_e32 v2, 16, v1
	v_lshrrev_b32_e32 v1, 2, v23
	v_cmp_ne_u32_e64 s2, 0, v0
	v_lshrrev_b32_e32 v20, 8, v3
	s_or_b32 s0, s1, s0
	v_and_or_b32 v2, 0x8000, v2, v16
	v_add_co_ci_u32_e64 v23, s0, 0, v1, s0
	v_cndmask_b32_e64 v0, 0, 1, s2
	v_cmp_ne_u32_e64 s0, 0, v28
	v_add_nc_u32_e32 v16, 0xfffffc10, v21
	v_and_b32_e32 v2, 0xffff, v2
	s_mul_i32 s1, s9, 0x62
	v_and_or_b32 v26, 0xffe, v20, v0
	v_mul_f64 v[0:1], v[7:8], s[12:13]
	v_cndmask_b32_e64 v24, 0, 1, s0
	v_sub_nc_u32_e32 v20, 0x3f1, v21
	v_cmp_gt_i32_e64 s0, 31, v10
	s_mul_hi_u32 s2, s8, 0x62
	v_lshl_or_b32 v8, v24, 9, 0x7c00
	v_med3_i32 v20, v20, 0, 13
	v_cndmask_b32_e64 v7, 0x7c00, v23, s0
	v_or_b32_e32 v23, 0x1000, v26
	v_cmp_eq_u32_e64 s0, 0x40f, v10
	v_mul_f16_sdwa v24, v45, v27 dst_sel:DWORD dst_unused:UNUSED_PAD src0_sel:WORD_1 src1_sel:DWORD
	s_add_i32 s1, s2, s1
	v_cndmask_b32_e64 v7, v7, v8, s0
	v_lshrrev_b32_e32 v8, 16, v9
	v_lshrrev_b32_e32 v9, v20, v23
	v_fmac_f16_e32 v24, v45, v11
	v_add_co_u32 v4, s0, v25, v4
	v_add_co_ci_u32_e64 v5, s0, v6, v5, s0
	v_lshlrev_b32_e32 v10, v20, v9
	v_and_or_b32 v0, 0x1ff, v1, v0
	v_cvt_f32_f16_e32 v6, v24
	v_and_or_b32 v8, 0x8000, v8, v7
	v_lshrrev_b32_e32 v20, 8, v1
	v_cmp_ne_u32_e64 s0, v10, v23
	v_bfe_u32 v21, v1, 20, 11
	v_cvt_f64_f32_e32 v[6:7], v6
	v_lshl_or_b32 v24, v8, 16, v2
	v_mul_f16_sdwa v11, v45, v11 dst_sel:DWORD dst_unused:UNUSED_PAD src0_sel:WORD_1 src1_sel:DWORD
	v_cndmask_b32_e64 v10, 0, 1, s0
	v_cmp_ne_u32_e64 s0, 0, v0
	v_or_b32_e32 v9, v9, v10
	v_cndmask_b32_e64 v0, 0, 1, s0
	v_lshl_or_b32 v10, v16, 12, v26
	v_cmp_gt_i32_e64 s0, 1, v16
	v_and_or_b32 v0, 0xffe, v20, v0
	v_sub_nc_u32_e32 v20, 0x3f1, v21
	v_cndmask_b32_e64 v10, v10, v9, s0
	s_mul_i32 s0, s8, 0x62
	v_or_b32_e32 v23, 0x1000, v0
	v_med3_i32 v20, v20, 0, 13
	s_lshl_b64 s[14:15], s[0:1], 2
	v_and_b32_e32 v2, 7, v10
	v_mul_f64 v[6:7], v[6:7], s[12:13]
	v_add_co_u32 v8, s0, v4, s14
	v_lshrrev_b32_e32 v25, v20, v23
	v_add_co_ci_u32_e64 v9, s0, s15, v5, s0
	v_cmp_lt_i32_e64 s0, 5, v2
	v_cmp_eq_u32_e64 s1, 3, v2
	v_lshlrev_b32_e32 v20, v20, v25
	v_fma_f16 v2, v45, v27, -v11
	v_lshrrev_b32_e32 v10, 2, v10
	s_or_b32 s0, s1, s0
	v_cmp_ne_u32_e64 s2, v20, v23
	v_cvt_f32_f16_e32 v2, v2
	v_add_co_ci_u32_e64 v27, s0, 0, v10, s0
	v_add_nc_u32_e32 v23, 0xfffffc10, v21
	v_cndmask_b32_e64 v11, 0, 1, s2
	v_cmp_ne_u32_e64 s0, 0, v26
	ds_read2_b32 v[20:21], v19 offset0:136 offset1:234
	global_store_dword v[4:5], v22, off
	global_store_dword v[8:9], v24, off
	v_lshrrev_b32_e32 v28, 8, v7
	v_or_b32_e32 v25, v25, v11
	v_cvt_f64_f32_e32 v[10:11], v2
	v_lshl_or_b32 v2, v23, 12, v0
	v_cndmask_b32_e64 v26, 0, 1, s0
	v_cmp_gt_i32_e64 s0, 1, v23
	v_bfe_u32 v29, v7, 20, 11
	v_lshl_or_b32 v26, v26, 9, 0x7c00
	v_cndmask_b32_e64 v25, v2, v25, s0
	v_and_or_b32 v2, 0x1ff, v7, v6
	v_cmp_gt_i32_e64 s0, 31, v16
	v_lshrrev_b32_e32 v7, 16, v7
	v_cndmask_b32_e64 v6, 0x7c00, v27, s0
	v_cmp_ne_u32_e64 s0, 0, v2
	v_and_b32_e32 v27, 7, v25
	v_cndmask_b32_e64 v2, 0, 1, s0
	v_cmp_eq_u32_e64 s0, 0x40f, v16
	v_cmp_eq_u32_e64 s1, 3, v27
	v_lshrrev_b32_e32 v16, 16, v3
	v_cndmask_b32_e64 v6, v6, v26, s0
	v_cmp_lt_i32_e64 s0, 5, v27
	v_and_or_b32 v26, 0xffe, v28, v2
	v_mul_f64 v[2:3], v[10:11], s[12:13]
	v_lshrrev_b32_e32 v11, 2, v25
	v_sub_nc_u32_e32 v28, 0x3f1, v29
	s_or_b32 s0, s1, s0
	v_or_b32_e32 v25, 0x1000, v26
	s_waitcnt lgkmcnt(0)
	v_lshrrev_b32_e32 v10, 16, v20
	v_add_co_ci_u32_e64 v11, s0, 0, v11, s0
	v_med3_i32 v27, v28, 0, 13
	v_cmp_ne_u32_e64 s0, 0, v0
	v_mul_f16_sdwa v28, v44, v10 dst_sel:DWORD dst_unused:UNUSED_PAD src0_sel:WORD_1 src1_sel:DWORD
	v_and_or_b32 v6, 0x8000, v16, v6
	v_lshrrev_b32_e32 v30, v27, v25
	v_cndmask_b32_e64 v0, 0, 1, s0
	v_cmp_gt_i32_e64 s0, 31, v23
	v_fmac_f16_e32 v28, v44, v20
	v_and_b32_e32 v6, 0xffff, v6
	v_lshlrev_b32_e32 v16, v27, v30
	v_lshl_or_b32 v0, v0, 9, 0x7c00
	v_cndmask_b32_e64 v11, 0x7c00, v11, s0
	v_cmp_eq_u32_e64 s0, 0x40f, v23
	v_and_or_b32 v2, 0x1ff, v3, v2
	v_cvt_f32_f16_e32 v27, v28
	v_lshrrev_b32_e32 v23, 16, v1
	v_bfe_u32 v28, v3, 20, 11
	v_cndmask_b32_e64 v11, v11, v0, s0
	v_cmp_ne_u32_e64 s0, v16, v25
	v_cvt_f64_f32_e32 v[0:1], v27
	v_add_nc_u32_e32 v25, 0xfffffc10, v29
	v_lshrrev_b32_e32 v27, 8, v3
	v_and_or_b32 v11, 0x8000, v23, v11
	v_cndmask_b32_e64 v16, 0, 1, s0
	v_cmp_ne_u32_e64 s0, 0, v2
	v_lshl_or_b32 v23, v25, 12, v26
	v_lshl_or_b32 v6, v11, 16, v6
	v_or_b32_e32 v16, v30, v16
	v_cndmask_b32_e64 v2, 0, 1, s0
	v_cmp_gt_i32_e64 s0, 1, v25
	v_and_or_b32 v2, 0xffe, v27, v2
	v_sub_nc_u32_e32 v27, 0x3f1, v28
	v_cndmask_b32_e64 v16, v23, v16, s0
	v_add_co_u32 v4, s0, v8, s14
	v_or_b32_e32 v23, 0x1000, v2
	v_med3_i32 v27, v27, 0, 13
	v_and_b32_e32 v11, 7, v16
	v_mul_f64 v[0:1], v[0:1], s[12:13]
	v_add_co_ci_u32_e64 v5, s0, s15, v9, s0
	v_lshrrev_b32_e32 v22, v27, v23
	v_cmp_lt_i32_e64 s0, 5, v11
	v_cmp_eq_u32_e64 s1, 3, v11
	v_mul_f16_sdwa v9, v44, v20 dst_sel:DWORD dst_unused:UNUSED_PAD src0_sel:WORD_1 src1_sel:DWORD
	v_lshrrev_b32_e32 v11, 2, v16
	v_lshlrev_b32_e32 v8, v27, v22
	global_store_dword v[4:5], v6, off
	s_or_b32 s0, s1, s0
	v_fma_f16 v9, v44, v10, -v9
	v_add_co_ci_u32_e64 v11, s0, 0, v11, s0
	v_cmp_ne_u32_e64 s2, v8, v23
	v_add_nc_u32_e32 v10, 0xfffffc10, v28
	v_cmp_ne_u32_e64 s0, 0, v26
	v_cvt_f32_f16_e32 v9, v9
	v_cndmask_b32_e64 v8, 0, 1, s2
	v_lshl_or_b32 v20, v10, 12, v2
	v_and_or_b32 v0, 0x1ff, v1, v0
	v_lshrrev_b32_e32 v23, 8, v1
	v_or_b32_e32 v16, v22, v8
	v_cndmask_b32_e64 v22, 0, 1, s0
	v_cmp_gt_i32_e64 s0, 1, v10
	v_cvt_f64_f32_e32 v[8:9], v9
	v_bfe_u32 v24, v1, 20, 11
	v_cndmask_b32_e64 v16, v20, v16, s0
	v_cmp_gt_i32_e64 s0, 31, v25
	v_lshl_or_b32 v20, v22, 9, 0x7c00
	v_and_b32_e32 v22, 7, v16
	v_cndmask_b32_e64 v11, 0x7c00, v11, s0
	v_cmp_ne_u32_e64 s0, 0, v0
	v_lshrrev_b32_e32 v16, 2, v16
	v_cmp_eq_u32_e64 s1, 3, v22
	v_cndmask_b32_e64 v0, 0, 1, s0
	v_cmp_eq_u32_e64 s0, 0x40f, v25
	v_and_or_b32 v0, 0xffe, v23, v0
	v_cndmask_b32_e64 v11, v11, v20, s0
	v_cmp_lt_i32_e64 s0, 5, v22
	v_lshrrev_b32_e32 v22, 16, v21
	v_mul_f64 v[8:9], v[8:9], s[12:13]
	v_sub_nc_u32_e32 v20, 0x3f1, v24
	v_or_b32_e32 v23, 0x1000, v0
	s_or_b32 s0, s1, s0
	v_mul_f16_sdwa v25, v43, v22 dst_sel:DWORD dst_unused:UNUSED_PAD src0_sel:WORD_1 src1_sel:DWORD
	v_add_co_ci_u32_e64 v16, s0, 0, v16, s0
	v_cmp_ne_u32_e64 s0, 0, v2
	v_med3_i32 v20, v20, 0, 13
	v_fmac_f16_e32 v25, v43, v21
	v_and_or_b32 v7, 0x8000, v7, v11
	v_mul_f16_sdwa v21, v43, v21 dst_sel:DWORD dst_unused:UNUSED_PAD src0_sel:WORD_1 src1_sel:DWORD
	v_cndmask_b32_e64 v2, 0, 1, s0
	v_cmp_gt_i32_e64 s0, 31, v10
	v_lshrrev_b32_e32 v26, v20, v23
	v_cvt_f32_f16_e32 v25, v25
	v_and_b32_e32 v7, 0xffff, v7
	v_lshl_or_b32 v2, v2, 9, 0x7c00
	v_cndmask_b32_e64 v16, 0x7c00, v16, s0
	v_cmp_eq_u32_e64 s0, 0x40f, v10
	v_lshlrev_b32_e32 v20, v20, v26
	v_and_or_b32 v8, 0x1ff, v9, v8
	v_cndmask_b32_e64 v10, v16, v2, s0
	v_lshrrev_b32_e32 v16, 16, v3
	v_cvt_f64_f32_e32 v[2:3], v25
	v_cmp_ne_u32_e64 s0, v20, v23
	v_add_nc_u32_e32 v23, 0xfffffc10, v24
	v_bfe_u32 v24, v9, 20, 11
	v_and_or_b32 v10, 0x8000, v16, v10
	v_cndmask_b32_e64 v20, 0, 1, s0
	v_cmp_ne_u32_e64 s0, 0, v8
	v_lshl_or_b32 v16, v23, 12, v0
	v_sub_nc_u32_e32 v6, 0x3f1, v24
	v_lshl_or_b32 v7, v10, 16, v7
	v_or_b32_e32 v11, v26, v20
	v_cndmask_b32_e64 v8, 0, 1, s0
	v_lshrrev_b32_e32 v20, 8, v9
	v_cmp_gt_i32_e64 s0, 1, v23
	v_med3_i32 v6, v6, 0, 13
	v_lshrrev_b32_e32 v9, 16, v9
	v_and_or_b32 v8, 0xffe, v20, v8
	v_cndmask_b32_e64 v11, v16, v11, s0
	v_add_co_u32 v4, s0, v4, s14
	v_mul_f64 v[2:3], v[2:3], s[12:13]
	v_or_b32_e32 v16, 0x1000, v8
	v_and_b32_e32 v10, 7, v11
	v_add_co_ci_u32_e64 v5, s0, s15, v5, s0
	v_lshrrev_b32_e32 v20, v6, v16
	v_cmp_lt_i32_e64 s0, 5, v10
	v_cmp_eq_u32_e64 s1, 3, v10
	global_store_dword v[4:5], v7, off
	v_lshrrev_b32_e32 v7, 2, v11
	v_lshlrev_b32_e32 v10, v6, v20
	v_fma_f16 v11, v43, v22, -v21
	s_or_b32 s0, s1, s0
	v_add_nc_u32_e32 v22, 0xfffffc10, v24
	v_add_co_ci_u32_e64 v21, s0, 0, v7, s0
	v_cmp_ne_u32_e64 s0, v10, v16
	ds_read2_b32 v[6:7], v17 offset0:76 offset1:174
	v_cvt_f32_f16_e32 v10, v11
	v_cndmask_b32_e64 v16, 0, 1, s0
	v_and_or_b32 v2, 0x1ff, v3, v2
	v_cmp_gt_i32_e64 s0, 31, v23
	v_cvt_f64_f32_e32 v[10:11], v10
	v_lshrrev_b32_e32 v24, 8, v3
	v_or_b32_e32 v16, v20, v16
	v_lshl_or_b32 v20, v22, 12, v8
	v_cndmask_b32_e64 v21, 0x7c00, v21, s0
	v_cmp_ne_u32_e64 s0, 0, v2
	v_bfe_u32 v25, v3, 20, 11
	v_cndmask_b32_e64 v2, 0, 1, s0
	v_cmp_ne_u32_e64 s0, 0, v0
	v_and_or_b32 v2, 0xffe, v24, v2
	v_cndmask_b32_e64 v0, 0, 1, s0
	v_cmp_gt_i32_e64 s0, 1, v22
	s_waitcnt lgkmcnt(0)
	v_lshrrev_b32_e32 v24, 16, v6
	v_or_b32_e32 v27, 0x1000, v2
	v_lshl_or_b32 v0, v0, 9, 0x7c00
	v_cndmask_b32_e64 v16, v20, v16, s0
	v_sub_nc_u32_e32 v20, 0x3f1, v25
	v_cmp_eq_u32_e64 s0, 0x40f, v23
	v_mul_f16_sdwa v28, v42, v24 dst_sel:DWORD dst_unused:UNUSED_PAD src0_sel:WORD_1 src1_sel:DWORD
	v_mul_f64 v[10:11], v[10:11], s[12:13]
	v_and_b32_e32 v26, 7, v16
	v_med3_i32 v20, v20, 0, 13
	v_cndmask_b32_e64 v21, v21, v0, s0
	v_lshrrev_b32_e32 v0, 2, v16
	v_fmac_f16_e32 v28, v42, v6
	v_cmp_lt_i32_e64 s0, 5, v26
	v_cmp_eq_u32_e64 s1, 3, v26
	v_lshrrev_b32_e32 v23, v20, v27
	v_lshrrev_b32_e32 v26, 16, v1
	v_cvt_f32_f16_e32 v1, v28
	v_add_nc_u32_e32 v25, 0xfffffc10, v25
	s_or_b32 s0, s1, s0
	v_lshlrev_b32_e32 v16, v20, v23
	v_add_co_ci_u32_e64 v20, s0, 0, v0, s0
	v_cmp_ne_u32_e64 s0, 0, v8
	v_cvt_f64_f32_e32 v[0:1], v1
	v_and_or_b32 v21, 0x8000, v26, v21
	v_mul_f16_sdwa v6, v42, v6 dst_sel:DWORD dst_unused:UNUSED_PAD src0_sel:WORD_1 src1_sel:DWORD
	v_lshrrev_b32_e32 v28, 16, v7
	v_cndmask_b32_e64 v8, 0, 1, s0
	v_cmp_ne_u32_e64 s0, v16, v27
	v_and_or_b32 v10, 0x1ff, v11, v10
	v_and_b32_e32 v21, 0xffff, v21
	v_fma_f16 v6, v42, v24, -v6
	v_lshl_or_b32 v8, v8, 9, 0x7c00
	v_cndmask_b32_e64 v16, 0, 1, s0
	v_cmp_gt_i32_e64 s0, 31, v22
	v_cvt_f32_f16_e32 v6, v6
	v_or_b32_e32 v16, v23, v16
	v_cndmask_b32_e64 v20, 0x7c00, v20, s0
	v_cmp_eq_u32_e64 s0, 0x40f, v22
	v_lshl_or_b32 v23, v25, 12, v2
	v_bfe_u32 v22, v11, 20, 11
	v_cndmask_b32_e64 v8, v20, v8, s0
	v_cmp_gt_i32_e64 s0, 1, v25
	v_lshrrev_b32_e32 v20, 8, v11
	v_mul_f64 v[0:1], v[0:1], s[12:13]
	v_lshrrev_b32_e32 v11, 16, v11
	v_and_or_b32 v8, 0x8000, v9, v8
	v_cndmask_b32_e64 v16, v23, v16, s0
	v_cmp_ne_u32_e64 s0, 0, v10
	v_lshl_or_b32 v21, v8, 16, v21
	v_and_b32_e32 v23, 7, v16
	v_cndmask_b32_e64 v10, 0, 1, s0
	v_lshrrev_b32_e32 v16, 2, v16
	v_cmp_lt_i32_e64 s0, 5, v23
	v_and_or_b32 v10, 0xffe, v20, v10
	v_sub_nc_u32_e32 v20, 0x3f1, v22
	v_cmp_eq_u32_e64 s1, 3, v23
	v_or_b32_e32 v9, 0x1000, v10
	v_med3_i32 v20, v20, 0, 13
	s_or_b32 s0, s1, s0
	v_and_or_b32 v0, 0x1ff, v1, v0
	v_add_co_ci_u32_e64 v16, s0, 0, v16, s0
	v_lshrrev_b32_e32 v23, v20, v9
	v_cmp_gt_i32_e64 s0, 31, v25
	v_bfe_u32 v24, v1, 20, 11
	v_lshlrev_b32_e32 v8, v20, v23
	v_cndmask_b32_e64 v16, 0x7c00, v16, s0
	v_cmp_ne_u32_e64 s0, v8, v9
	v_cvt_f64_f32_e32 v[8:9], v6
	v_add_nc_u32_e32 v6, 0xfffffc10, v22
	v_lshrrev_b32_e32 v22, 8, v1
	v_lshrrev_b32_e32 v1, 16, v1
	v_cndmask_b32_e64 v20, 0, 1, s0
	v_cmp_ne_u32_e64 s0, 0, v0
	v_or_b32_e32 v20, v23, v20
	v_cndmask_b32_e64 v0, 0, 1, s0
	v_cmp_ne_u32_e64 s0, 0, v2
	v_lshl_or_b32 v23, v6, 12, v10
	v_and_or_b32 v0, 0xffe, v22, v0
	v_cndmask_b32_e64 v2, 0, 1, s0
	v_cmp_gt_i32_e64 s0, 1, v6
	v_sub_nc_u32_e32 v22, 0x3f1, v24
	v_lshl_or_b32 v2, v2, 9, 0x7c00
	v_cndmask_b32_e64 v20, v23, v20, s0
	v_cmp_eq_u32_e64 s0, 0x40f, v25
	v_or_b32_e32 v23, 0x1000, v0
	v_med3_i32 v22, v22, 0, 13
	v_lshrrev_b32_e32 v25, 16, v3
	v_and_b32_e32 v26, 7, v20
	v_cndmask_b32_e64 v16, v16, v2, s0
	v_mul_f64 v[2:3], v[8:9], s[12:13]
	v_lshrrev_b32_e32 v27, v22, v23
	v_add_co_u32 v4, s0, v4, s14
	v_add_co_ci_u32_e64 v5, s0, s15, v5, s0
	v_lshlrev_b32_e32 v9, v22, v27
	v_mul_f16_sdwa v8, v41, v28 dst_sel:DWORD dst_unused:UNUSED_PAD src0_sel:WORD_1 src1_sel:DWORD
	v_cmp_lt_i32_e64 s0, 5, v26
	v_cmp_eq_u32_e64 s1, 3, v26
	v_lshrrev_b32_e32 v20, 2, v20
	v_cmp_ne_u32_e64 s2, v9, v23
	v_fmac_f16_e32 v8, v41, v7
	v_add_nc_u32_e32 v22, 0xfffffc10, v24
	s_or_b32 s0, s1, s0
	v_and_or_b32 v16, 0x8000, v25, v16
	v_add_co_ci_u32_e64 v20, s0, 0, v20, s0
	v_cndmask_b32_e64 v9, 0, 1, s2
	v_cmp_ne_u32_e64 s0, 0, v10
	v_cvt_f32_f16_e32 v8, v8
	v_lshl_or_b32 v24, v22, 12, v0
	v_and_or_b32 v2, 0x1ff, v3, v2
	v_or_b32_e32 v23, v27, v9
	v_cndmask_b32_e64 v10, 0, 1, s0
	v_cmp_gt_i32_e64 s0, 1, v22
	v_cvt_f64_f32_e32 v[8:9], v8
	v_bfe_u32 v25, v3, 20, 11
	v_and_b32_e32 v16, 0xffff, v16
	v_lshl_or_b32 v10, v10, 9, 0x7c00
	v_cndmask_b32_e64 v23, v24, v23, s0
	v_cmp_ne_u32_e64 s0, 0, v2
	v_lshrrev_b32_e32 v24, 8, v3
	v_mul_f16_sdwa v7, v41, v7 dst_sel:DWORD dst_unused:UNUSED_PAD src0_sel:WORD_1 src1_sel:DWORD
	v_and_b32_e32 v26, 7, v23
	v_cndmask_b32_e64 v2, 0, 1, s0
	v_cmp_gt_i32_e64 s0, 31, v6
	v_fma_f16 v7, v41, v28, -v7
	v_cmp_eq_u32_e64 s1, 3, v26
	v_and_or_b32 v2, 0xffe, v24, v2
	v_cndmask_b32_e64 v20, 0x7c00, v20, s0
	v_cmp_eq_u32_e64 s0, 0x40f, v6
	ds_read_b32 v24, v39 offset:3136
	v_cndmask_b32_e64 v6, v20, v10, s0
	v_sub_nc_u32_e32 v10, 0x3f1, v25
	v_cmp_lt_i32_e64 s0, 5, v26
	v_mul_f64 v[8:9], v[8:9], s[12:13]
	v_or_b32_e32 v20, 0x1000, v2
	v_and_or_b32 v6, 0x8000, v11, v6
	v_lshrrev_b32_e32 v11, 2, v23
	v_med3_i32 v10, v10, 0, 13
	s_or_b32 s0, s1, s0
	v_lshl_or_b32 v16, v6, 16, v16
	v_add_co_ci_u32_e64 v11, s0, 0, v11, s0
	v_lshrrev_b32_e32 v23, v10, v20
	v_cmp_ne_u32_e64 s0, 0, v0
	v_lshlrev_b32_e32 v6, v10, v23
	v_cndmask_b32_e64 v0, 0, 1, s0
	v_cmp_gt_i32_e64 s0, 31, v22
	v_lshl_or_b32 v0, v0, 9, 0x7c00
	v_cndmask_b32_e64 v10, 0x7c00, v11, s0
	v_cmp_ne_u32_e64 s0, v6, v20
	v_and_or_b32 v8, 0x1ff, v9, v8
	v_add_nc_u32_e32 v20, 0xfffffc10, v25
	v_cndmask_b32_e64 v6, 0, 1, s0
	v_cmp_eq_u32_e64 s0, 0x40f, v22
	v_lshl_or_b32 v11, v20, 12, v2
	v_lshrrev_b32_e32 v22, 8, v9
	v_cndmask_b32_e64 v0, v10, v0, s0
	v_cmp_ne_u32_e64 s0, 0, v8
	v_or_b32_e32 v10, v23, v6
	v_cvt_f32_f16_e32 v6, v7
	v_bfe_u32 v23, v9, 20, 11
	v_and_or_b32 v30, 0x8000, v1, v0
	v_cndmask_b32_e64 v8, 0, 1, s0
	v_cmp_gt_i32_e64 s0, 1, v20
	v_cvt_f64_f32_e32 v[6:7], v6
	v_lshrrev_b32_e32 v9, 16, v9
	v_and_or_b32 v8, 0xffe, v22, v8
	v_cndmask_b32_e64 v25, v11, v10, s0
	v_sub_nc_u32_e32 v10, 0x3f1, v23
	s_waitcnt lgkmcnt(0)
	v_lshrrev_b32_e32 v22, 16, v24
	v_add_nc_u32_e32 v23, 0xfffffc10, v23
	v_or_b32_e32 v27, 0x1000, v8
	v_and_b32_e32 v26, 7, v25
	v_med3_i32 v28, v10, 0, 13
	v_mul_f16_sdwa v29, v40, v22 dst_sel:DWORD dst_unused:UNUSED_PAD src0_sel:WORD_1 src1_sel:DWORD
	v_add_co_u32 v10, s0, v4, s14
	v_add_co_ci_u32_e64 v11, s0, s15, v5, s0
	v_lshrrev_b32_e32 v31, v28, v27
	v_fmac_f16_e32 v29, v40, v24
	v_cmp_lt_i32_e64 s0, 5, v26
	v_cmp_eq_u32_e64 s1, 3, v26
	v_lshrrev_b32_e32 v25, 2, v25
	v_lshlrev_b32_e32 v26, v28, v31
	v_cvt_f32_f16_e32 v28, v29
	v_mul_f64 v[0:1], v[6:7], s[12:13]
	s_or_b32 s0, s1, s0
	v_mul_f16_sdwa v24, v40, v24 dst_sel:DWORD dst_unused:UNUSED_PAD src0_sel:WORD_1 src1_sel:DWORD
	v_add_co_ci_u32_e64 v25, s0, 0, v25, s0
	v_cmp_ne_u32_e64 s0, v26, v27
	v_cvt_f64_f32_e32 v[6:7], v28
	v_lshl_or_b32 v27, v23, 12, v8
	v_fma_f16 v22, v40, v22, -v24
	v_cndmask_b32_e64 v26, 0, 1, s0
	v_cmp_ne_u32_e64 s0, 0, v2
	v_cvt_f32_f16_e32 v22, v22
	v_or_b32_e32 v26, v31, v26
	v_cndmask_b32_e64 v2, 0, 1, s0
	v_cmp_gt_i32_e64 s0, 31, v20
	v_lshl_or_b32 v2, v2, 9, 0x7c00
	v_cndmask_b32_e64 v24, 0x7c00, v25, s0
	v_cmp_gt_i32_e64 s0, 1, v23
	v_and_or_b32 v0, 0x1ff, v1, v0
	v_cndmask_b32_e64 v25, v27, v26, s0
	v_cmp_eq_u32_e64 s0, 0x40f, v20
	v_mul_f64 v[6:7], v[6:7], s[12:13]
	v_lshrrev_b32_e32 v26, 8, v1
	v_bfe_u32 v27, v1, 20, 11
	v_lshrrev_b32_e32 v1, 16, v1
	v_cndmask_b32_e64 v20, v24, v2, s0
	v_lshrrev_b32_e32 v24, 16, v3
	v_cvt_f64_f32_e32 v[2:3], v22
	v_cmp_ne_u32_e64 s0, 0, v0
	v_and_b32_e32 v22, 7, v25
	v_and_or_b32 v20, 0x8000, v24, v20
	v_and_b32_e32 v24, 0xffff, v30
	v_cndmask_b32_e64 v0, 0, 1, s0
	v_cmp_lt_i32_e64 s0, 5, v22
	v_cmp_eq_u32_e64 s1, 3, v22
	v_lshrrev_b32_e32 v22, 2, v25
	v_lshl_or_b32 v20, v20, 16, v24
	v_and_or_b32 v0, 0xffe, v26, v0
	v_sub_nc_u32_e32 v26, 0x3f1, v27
	s_or_b32 s0, s1, s0
	v_add_co_ci_u32_e64 v22, s0, 0, v22, s0
	v_or_b32_e32 v24, 0x1000, v0
	v_med3_i32 v25, v26, 0, 13
	v_cmp_ne_u32_e64 s0, 0, v8
	v_and_or_b32 v6, 0x1ff, v7, v6
	v_lshrrev_b32_e32 v28, 8, v7
	v_mul_f64 v[2:3], v[2:3], s[12:13]
	v_lshrrev_b32_e32 v26, v25, v24
	v_cndmask_b32_e64 v8, 0, 1, s0
	v_cmp_gt_i32_e64 s0, 31, v23
	v_bfe_u32 v29, v7, 20, 11
	v_lshrrev_b32_e32 v7, 16, v7
	v_lshlrev_b32_e32 v25, v25, v26
	v_lshl_or_b32 v8, v8, 9, 0x7c00
	v_cndmask_b32_e64 v22, 0x7c00, v22, s0
	v_cmp_ne_u32_e64 s0, 0, v6
	v_cndmask_b32_e64 v6, 0, 1, s0
	v_cmp_ne_u32_e64 s0, v25, v24
	v_add_nc_u32_e32 v25, 0xfffffc10, v27
	v_sub_nc_u32_e32 v27, 0x3f1, v29
	v_and_or_b32 v6, 0xffe, v28, v6
	v_cndmask_b32_e64 v24, 0, 1, s0
	v_cmp_eq_u32_e64 s0, 0x40f, v23
	v_lshl_or_b32 v23, v25, 12, v0
	v_and_or_b32 v2, 0x1ff, v3, v2
	v_bfe_u32 v28, v3, 20, 11
	v_cndmask_b32_e64 v8, v22, v8, s0
	v_or_b32_e32 v22, v26, v24
	v_or_b32_e32 v24, 0x1000, v6
	v_med3_i32 v26, v27, 0, 13
	v_cmp_gt_i32_e64 s0, 1, v25
	v_lshrrev_b32_e32 v27, 8, v3
	v_and_or_b32 v8, 0x8000, v9, v8
	v_sub_nc_u32_e32 v9, 0x3f1, v28
	v_cndmask_b32_e64 v22, v23, v22, s0
	v_lshrrev_b32_e32 v23, v26, v24
	v_cmp_ne_u32_e64 s0, 0, v2
	v_med3_i32 v9, v9, 0, 13
	v_and_b32_e32 v30, 7, v22
	v_lshlrev_b32_e32 v26, v26, v23
	v_cndmask_b32_e64 v2, 0, 1, s0
	v_lshrrev_b32_e32 v22, 2, v22
	v_cmp_lt_i32_e64 s0, 5, v30
	v_cmp_ne_u32_e64 s1, v26, v24
	v_and_or_b32 v2, 0xffe, v27, v2
	v_add_nc_u32_e32 v27, 0xfffffc10, v29
	v_cndmask_b32_e64 v24, 0, 1, s1
	v_cmp_eq_u32_e64 s1, 3, v30
	v_or_b32_e32 v26, 0x1000, v2
	v_lshl_or_b32 v29, v27, 12, v6
	v_or_b32_e32 v23, v23, v24
	s_or_b32 s0, s1, s0
	v_lshrrev_b32_e32 v24, v9, v26
	v_add_co_ci_u32_e64 v22, s0, 0, v22, s0
	v_cmp_gt_i32_e64 s0, 1, v27
	v_lshlrev_b32_e32 v9, v9, v24
	v_cndmask_b32_e64 v23, v29, v23, s0
	v_cmp_ne_u32_e64 s0, 0, v0
	v_cndmask_b32_e64 v0, 0, 1, s0
	v_cmp_ne_u32_e64 s0, v9, v26
	v_add_nc_u32_e32 v26, 0xfffffc10, v28
	v_and_b32_e32 v28, 7, v23
	v_lshl_or_b32 v0, v0, 9, 0x7c00
	v_cndmask_b32_e64 v9, 0, 1, s0
	v_cmp_gt_i32_e64 s0, 31, v25
	v_cmp_gt_i32_e64 s2, 1, v26
	v_cmp_eq_u32_e64 s1, 3, v28
	v_or_b32_e32 v9, v24, v9
	v_lshl_or_b32 v24, v26, 12, v2
	v_cndmask_b32_e64 v22, 0x7c00, v22, s0
	v_cmp_lt_i32_e64 s0, 5, v28
	v_cndmask_b32_e64 v9, v24, v9, s2
	v_cmp_eq_u32_e64 s2, 0x40f, v25
	s_or_b32 s0, s1, s0
	v_cndmask_b32_e64 v0, v22, v0, s2
	v_lshrrev_b32_e32 v22, 2, v23
	v_and_b32_e32 v23, 7, v9
	v_lshrrev_b32_e32 v9, 2, v9
	v_cmp_gt_i32_e64 s2, 31, v27
	v_and_or_b32 v0, 0x8000, v1, v0
	v_add_co_ci_u32_e64 v22, s0, 0, v22, s0
	v_cmp_ne_u32_e64 s0, 0, v6
	v_cmp_eq_u32_e64 s1, 3, v23
	v_and_b32_e32 v1, 0xffff, v8
	v_cndmask_b32_e64 v22, 0x7c00, v22, s2
	v_lshrrev_b32_e32 v8, 16, v3
	v_cndmask_b32_e64 v6, 0, 1, s0
	v_cmp_lt_i32_e64 s0, 5, v23
	v_lshl_or_b32 v6, v6, 9, 0x7c00
	s_or_b32 s0, s1, s0
	v_add_co_ci_u32_e64 v9, s0, 0, v9, s0
	v_cmp_ne_u32_e64 s0, 0, v2
	v_cndmask_b32_e64 v2, 0, 1, s0
	v_cmp_eq_u32_e64 s0, 0x40f, v27
	v_lshl_or_b32 v2, v2, 9, 0x7c00
	v_cndmask_b32_e64 v6, v22, v6, s0
	v_cmp_gt_i32_e64 s0, 31, v26
	v_and_or_b32 v6, 0x8000, v7, v6
	v_cndmask_b32_e64 v9, 0x7c00, v9, s0
	v_cmp_eq_u32_e64 s0, 0x40f, v26
	v_cndmask_b32_e64 v7, v9, v2, s0
	v_add_co_u32 v2, s0, v10, s14
	v_add_co_ci_u32_e64 v3, s0, s15, v11, s0
	v_lshl_or_b32 v9, v0, 16, v1
	v_and_or_b32 v0, 0x8000, v8, v7
	v_and_b32_e32 v1, 0xffff, v6
	v_add_co_u32 v6, s0, v2, s14
	v_add_co_ci_u32_e64 v7, s0, s15, v3, s0
	v_lshl_or_b32 v8, v0, 16, v1
	v_add_co_u32 v0, s0, v6, s14
	v_add_co_ci_u32_e64 v1, s0, s15, v7, s0
	global_store_dword v[4:5], v21, off
	global_store_dword v[10:11], v16, off
	;; [unrolled: 1-line block ×5, first 2 shown]
	s_and_b32 exec_lo, exec_lo, vcc_lo
	s_cbranch_execz .LBB0_15
; %bb.14:
	s_clause 0x2
	global_load_dword v6, v[14:15], off offset:252
	global_load_dword v7, v[14:15], off offset:644
	global_load_dword v8, v[14:15], off offset:1036
	ds_read2_b32 v[2:3], v39 offset0:63 offset1:161
	ds_read2_b32 v[4:5], v19 offset0:3 offset1:101
	v_mad_u64_u32 v[0:1], null, 0xfffff4bc, s8, v[0:1]
	s_mul_i32 s0, s9, 0xfffff4bc
	s_sub_i32 s0, s0, s8
	v_add_nc_u32_e32 v1, s0, v1
	v_add_co_u32 v23, vcc_lo, v0, s14
	v_add_co_ci_u32_e32 v24, vcc_lo, s15, v1, vcc_lo
	s_waitcnt lgkmcnt(1)
	v_lshrrev_b32_e32 v9, 16, v2
	v_lshrrev_b32_e32 v11, 16, v3
	s_waitcnt lgkmcnt(0)
	v_lshrrev_b32_e32 v19, 16, v4
	s_waitcnt vmcnt(2)
	v_mul_f16_sdwa v10, v9, v6 dst_sel:DWORD dst_unused:UNUSED_PAD src0_sel:DWORD src1_sel:WORD_1
	v_mul_f16_sdwa v16, v2, v6 dst_sel:DWORD dst_unused:UNUSED_PAD src0_sel:DWORD src1_sel:WORD_1
	s_waitcnt vmcnt(1)
	v_mul_f16_sdwa v20, v11, v7 dst_sel:DWORD dst_unused:UNUSED_PAD src0_sel:DWORD src1_sel:WORD_1
	s_waitcnt vmcnt(0)
	v_mul_f16_sdwa v21, v4, v8 dst_sel:DWORD dst_unused:UNUSED_PAD src0_sel:DWORD src1_sel:WORD_1
	v_fmac_f16_e32 v10, v2, v6
	v_fma_f16 v2, v6, v9, -v16
	v_mul_f16_sdwa v9, v3, v7 dst_sel:DWORD dst_unused:UNUSED_PAD src0_sel:DWORD src1_sel:WORD_1
	v_fmac_f16_e32 v20, v3, v7
	v_cvt_f32_f16_e32 v6, v10
	v_cvt_f32_f16_e32 v16, v2
	v_mul_f16_sdwa v10, v19, v8 dst_sel:DWORD dst_unused:UNUSED_PAD src0_sel:DWORD src1_sel:WORD_1
	v_fma_f16 v9, v7, v11, -v9
	v_cvt_f32_f16_e32 v11, v20
	v_cvt_f64_f32_e32 v[2:3], v6
	v_cvt_f64_f32_e32 v[6:7], v16
	v_fmac_f16_e32 v10, v4, v8
	v_fma_f16 v4, v8, v19, -v21
	v_cvt_f32_f16_e32 v16, v9
	v_cvt_f64_f32_e32 v[8:9], v11
	v_cvt_f32_f16_e32 v19, v10
	v_cvt_f32_f16_e32 v4, v4
	v_cvt_f64_f32_e32 v[10:11], v16
	v_cvt_f64_f32_e32 v[19:20], v19
	;; [unrolled: 1-line block ×3, first 2 shown]
	v_mul_f64 v[2:3], v[2:3], s[12:13]
	v_mul_f64 v[6:7], v[6:7], s[12:13]
	;; [unrolled: 1-line block ×6, first 2 shown]
	v_and_or_b32 v2, 0x1ff, v3, v2
	v_and_or_b32 v6, 0x1ff, v7, v6
	v_lshrrev_b32_e32 v4, 8, v3
	v_bfe_u32 v16, v3, 20, 11
	v_lshrrev_b32_e32 v25, 8, v7
	v_cmp_ne_u32_e32 vcc_lo, 0, v2
	v_and_or_b32 v8, 0x1ff, v9, v8
	v_bfe_u32 v26, v7, 20, 11
	v_lshrrev_b32_e32 v27, 8, v9
	v_and_or_b32 v10, 0x1ff, v11, v10
	v_cndmask_b32_e64 v2, 0, 1, vcc_lo
	v_cmp_ne_u32_e32 vcc_lo, 0, v6
	v_and_or_b32 v19, 0x1ff, v20, v19
	v_and_or_b32 v21, 0x1ff, v22, v21
	v_bfe_u32 v28, v9, 20, 11
	v_and_or_b32 v2, 0xffe, v4, v2
	v_cndmask_b32_e64 v6, 0, 1, vcc_lo
	v_cmp_ne_u32_e32 vcc_lo, 0, v8
	v_bfe_u32 v30, v11, 20, 11
	v_sub_nc_u32_e32 v35, 0x3f1, v16
	v_add_nc_u32_e32 v16, 0xfffffc10, v16
	v_sub_nc_u32_e32 v36, 0x3f1, v26
	v_cndmask_b32_e64 v8, 0, 1, vcc_lo
	v_cmp_ne_u32_e32 vcc_lo, 0, v10
	v_and_or_b32 v6, 0xffe, v25, v6
	v_lshrrev_b32_e32 v29, 8, v11
	v_bfe_u32 v32, v20, 20, 11
	v_bfe_u32 v34, v22, 20, 11
	v_cndmask_b32_e64 v10, 0, 1, vcc_lo
	v_cmp_ne_u32_e32 vcc_lo, 0, v19
	v_add_nc_u32_e32 v26, 0xfffffc10, v26
	v_sub_nc_u32_e32 v37, 0x3f1, v28
	v_sub_nc_u32_e32 v38, 0x3f1, v30
	v_med3_i32 v4, v35, 0, 13
	v_cndmask_b32_e64 v19, 0, 1, vcc_lo
	v_cmp_ne_u32_e32 vcc_lo, 0, v21
	v_med3_i32 v25, v36, 0, 13
	v_and_or_b32 v8, 0xffe, v27, v8
	v_or_b32_e32 v35, 0x1000, v2
	v_lshl_or_b32 v36, v16, 12, v2
	v_cndmask_b32_e64 v21, 0, 1, vcc_lo
	v_cmp_ne_u32_e32 vcc_lo, 0, v2
	v_lshrrev_b32_e32 v31, 8, v20
	v_lshrrev_b32_e32 v33, 8, v22
	v_add_nc_u32_e32 v28, 0xfffffc10, v28
	v_sub_nc_u32_e32 v40, 0x3f1, v32
	v_cndmask_b32_e64 v2, 0, 1, vcc_lo
	v_cmp_ne_u32_e32 vcc_lo, 0, v6
	v_sub_nc_u32_e32 v41, 0x3f1, v34
	v_med3_i32 v27, v37, 0, 13
	v_and_or_b32 v10, 0xffe, v29, v10
	v_med3_i32 v29, v38, 0, 13
	v_or_b32_e32 v37, 0x1000, v6
	v_lshl_or_b32 v38, v26, 12, v6
	v_cndmask_b32_e64 v6, 0, 1, vcc_lo
	v_cmp_ne_u32_e32 vcc_lo, 0, v8
	v_add_nc_u32_e32 v30, 0xfffffc10, v30
	v_and_or_b32 v19, 0xffe, v31, v19
	v_med3_i32 v31, v40, 0, 13
	v_and_or_b32 v21, 0xffe, v33, v21
	v_med3_i32 v33, v41, 0, 13
	v_or_b32_e32 v40, 0x1000, v8
	v_lshl_or_b32 v41, v28, 12, v8
	v_cndmask_b32_e64 v8, 0, 1, vcc_lo
	v_cmp_ne_u32_e32 vcc_lo, 0, v10
	v_add_nc_u32_e32 v32, 0xfffffc10, v32
	v_or_b32_e32 v42, 0x1000, v10
	v_lshl_or_b32 v43, v30, 12, v10
	v_lshrrev_b32_e32 v48, v4, v35
	v_cndmask_b32_e64 v10, 0, 1, vcc_lo
	v_cmp_ne_u32_e32 vcc_lo, 0, v19
	v_add_nc_u32_e32 v34, 0xfffffc10, v34
	v_or_b32_e32 v44, 0x1000, v19
	v_lshl_or_b32 v45, v32, 12, v19
	v_lshrrev_b32_e32 v49, v25, v37
	v_cndmask_b32_e64 v19, 0, 1, vcc_lo
	v_cmp_ne_u32_e32 vcc_lo, 0, v21
	v_lshlrev_b32_e32 v4, v4, v48
	v_or_b32_e32 v46, 0x1000, v21
	v_lshl_or_b32 v47, v34, 12, v21
	v_lshrrev_b32_e32 v50, v27, v40
	v_cndmask_b32_e64 v21, 0, 1, vcc_lo
	v_lshlrev_b32_e32 v25, v25, v49
	v_cmp_ne_u32_e32 vcc_lo, v4, v35
	v_lshrrev_b32_e32 v51, v29, v42
	v_lshlrev_b32_e32 v27, v27, v50
	v_lshrrev_b32_e32 v52, v31, v44
	v_lshrrev_b32_e32 v53, v33, v46
	v_cndmask_b32_e64 v4, 0, 1, vcc_lo
	v_cmp_ne_u32_e32 vcc_lo, v25, v37
	v_lshlrev_b32_e32 v29, v29, v51
	v_lshlrev_b32_e32 v31, v31, v52
	;; [unrolled: 1-line block ×3, first 2 shown]
	v_or_b32_e32 v4, v48, v4
	v_cndmask_b32_e64 v25, 0, 1, vcc_lo
	v_cmp_ne_u32_e32 vcc_lo, v27, v40
	v_lshl_or_b32 v2, v2, 9, 0x7c00
	v_lshl_or_b32 v6, v6, 9, 0x7c00
	;; [unrolled: 1-line block ×3, first 2 shown]
	v_or_b32_e32 v25, v49, v25
	v_cndmask_b32_e64 v27, 0, 1, vcc_lo
	v_cmp_ne_u32_e32 vcc_lo, v29, v42
	v_lshl_or_b32 v10, v10, 9, 0x7c00
	v_lshl_or_b32 v19, v19, 9, 0x7c00
	v_lshrrev_b32_e32 v3, 16, v3
	v_or_b32_e32 v27, v50, v27
	v_cndmask_b32_e64 v29, 0, 1, vcc_lo
	v_cmp_ne_u32_e32 vcc_lo, v31, v44
	v_lshrrev_b32_e32 v9, 16, v9
	v_lshrrev_b32_e32 v20, 16, v20
	v_lshl_or_b32 v21, v21, 9, 0x7c00
	v_or_b32_e32 v29, v51, v29
	v_cndmask_b32_e64 v31, 0, 1, vcc_lo
	v_cmp_ne_u32_e32 vcc_lo, v33, v46
	v_lshrrev_b32_e32 v7, 16, v7
	v_lshrrev_b32_e32 v11, 16, v11
	;; [unrolled: 1-line block ×3, first 2 shown]
	v_or_b32_e32 v31, v52, v31
	v_cndmask_b32_e64 v33, 0, 1, vcc_lo
	v_cmp_gt_i32_e32 vcc_lo, 1, v16
	v_or_b32_e32 v33, v53, v33
	v_cndmask_b32_e32 v4, v36, v4, vcc_lo
	v_cmp_gt_i32_e32 vcc_lo, 1, v26
	v_and_b32_e32 v35, 7, v4
	v_cndmask_b32_e32 v25, v38, v25, vcc_lo
	v_cmp_gt_i32_e32 vcc_lo, 1, v28
	v_lshrrev_b32_e32 v4, 2, v4
	v_cmp_eq_u32_e64 s0, 3, v35
	v_and_b32_e32 v36, 7, v25
	v_cndmask_b32_e32 v27, v41, v27, vcc_lo
	v_cmp_gt_i32_e32 vcc_lo, 1, v30
	v_lshrrev_b32_e32 v25, 2, v25
	v_cmp_lt_i32_e64 s1, 5, v36
	v_and_b32_e32 v37, 7, v27
	v_cndmask_b32_e32 v29, v43, v29, vcc_lo
	v_cmp_gt_i32_e32 vcc_lo, 1, v32
	v_cmp_eq_u32_e64 s2, 3, v36
	v_lshrrev_b32_e32 v27, 2, v27
	v_cmp_lt_i32_e64 s3, 5, v37
	v_and_b32_e32 v38, 7, v29
	v_cndmask_b32_e32 v31, v45, v31, vcc_lo
	v_cmp_gt_i32_e32 vcc_lo, 1, v34
	v_cmp_eq_u32_e64 s4, 3, v37
	v_lshrrev_b32_e32 v29, 2, v29
	v_cmp_lt_i32_e64 s5, 5, v38
	v_and_b32_e32 v40, 7, v31
	v_cndmask_b32_e32 v33, v47, v33, vcc_lo
	v_cmp_lt_i32_e32 vcc_lo, 5, v35
	v_cmp_eq_u32_e64 s6, 3, v38
	v_lshrrev_b32_e32 v31, 2, v31
	v_cmp_lt_i32_e64 s7, 5, v40
	v_and_b32_e32 v41, 7, v33
	s_or_b32 vcc_lo, s0, vcc_lo
	v_cmp_eq_u32_e64 s8, 3, v40
	v_add_co_ci_u32_e32 v4, vcc_lo, 0, v4, vcc_lo
	s_or_b32 vcc_lo, s2, s1
	v_cmp_lt_i32_e64 s9, 5, v41
	v_add_co_ci_u32_e32 v25, vcc_lo, 0, v25, vcc_lo
	s_or_b32 vcc_lo, s4, s3
	v_cmp_eq_u32_e64 s10, 3, v41
	v_add_co_ci_u32_e32 v27, vcc_lo, 0, v27, vcc_lo
	s_or_b32 vcc_lo, s6, s5
	v_lshrrev_b32_e32 v33, 2, v33
	v_add_co_ci_u32_e32 v29, vcc_lo, 0, v29, vcc_lo
	s_or_b32 vcc_lo, s8, s7
	v_add_co_ci_u32_e32 v31, vcc_lo, 0, v31, vcc_lo
	s_or_b32 vcc_lo, s10, s9
	v_add_co_ci_u32_e32 v33, vcc_lo, 0, v33, vcc_lo
	v_cmp_gt_i32_e32 vcc_lo, 31, v16
	v_cndmask_b32_e32 v4, 0x7c00, v4, vcc_lo
	v_cmp_gt_i32_e32 vcc_lo, 31, v26
	v_cndmask_b32_e32 v25, 0x7c00, v25, vcc_lo
	;; [unrolled: 2-line block ×6, first 2 shown]
	v_cmp_eq_u32_e32 vcc_lo, 0x40f, v16
	v_cndmask_b32_e32 v2, v4, v2, vcc_lo
	v_cmp_eq_u32_e32 vcc_lo, 0x40f, v26
	v_and_or_b32 v2, 0x8000, v3, v2
	v_cndmask_b32_e32 v4, v25, v6, vcc_lo
	v_cmp_eq_u32_e32 vcc_lo, 0x40f, v28
	v_and_or_b32 v4, 0x8000, v7, v4
	;; [unrolled: 3-line block ×3, first 2 shown]
	v_cndmask_b32_e32 v8, v29, v10, vcc_lo
	v_cmp_eq_u32_e32 vcc_lo, 0x40f, v32
	v_and_b32_e32 v9, 0xffff, v2
	v_and_or_b32 v7, 0x8000, v11, v8
	v_cndmask_b32_e32 v10, v31, v19, vcc_lo
	v_cmp_eq_u32_e32 vcc_lo, 0x40f, v34
	v_lshl_or_b32 v4, v4, 16, v9
	v_and_or_b32 v6, 0x8000, v20, v10
	v_cndmask_b32_e32 v16, v33, v21, vcc_lo
	v_and_b32_e32 v10, 0xffff, v3
	v_add_co_u32 v2, vcc_lo, v23, s14
	v_and_b32_e32 v6, 0xffff, v6
	v_and_or_b32 v8, 0x8000, v22, v16
	v_lshl_or_b32 v7, v7, 16, v10
	v_add_co_ci_u32_e32 v3, vcc_lo, s15, v24, vcc_lo
	v_lshl_or_b32 v6, v8, 16, v6
	global_store_dword v[0:1], v4, off
	global_store_dword v[23:24], v7, off
	;; [unrolled: 1-line block ×3, first 2 shown]
	global_load_dword v0, v[14:15], off offset:1428
	v_lshrrev_b32_e32 v1, 16, v5
	s_waitcnt vmcnt(0)
	v_mul_f16_sdwa v4, v1, v0 dst_sel:DWORD dst_unused:UNUSED_PAD src0_sel:DWORD src1_sel:WORD_1
	v_mul_f16_sdwa v6, v5, v0 dst_sel:DWORD dst_unused:UNUSED_PAD src0_sel:DWORD src1_sel:WORD_1
	v_fmac_f16_e32 v4, v5, v0
	v_fma_f16 v0, v0, v1, -v6
	v_cvt_f32_f16_e32 v1, v4
	v_cvt_f32_f16_e32 v4, v0
	v_cvt_f64_f32_e32 v[0:1], v1
	v_cvt_f64_f32_e32 v[4:5], v4
	v_mul_f64 v[0:1], v[0:1], s[12:13]
	v_mul_f64 v[4:5], v[4:5], s[12:13]
	v_and_or_b32 v0, 0x1ff, v1, v0
	v_and_or_b32 v4, 0x1ff, v5, v4
	v_lshrrev_b32_e32 v6, 8, v1
	v_bfe_u32 v7, v1, 20, 11
	v_lshrrev_b32_e32 v8, 8, v5
	v_cmp_ne_u32_e32 vcc_lo, 0, v0
	v_bfe_u32 v9, v5, 20, 11
	v_lshrrev_b32_e32 v1, 16, v1
	v_sub_nc_u32_e32 v10, 0x3f1, v7
	v_add_nc_u32_e32 v7, 0xfffffc10, v7
	v_cndmask_b32_e64 v0, 0, 1, vcc_lo
	v_cmp_ne_u32_e32 vcc_lo, 0, v4
	v_lshrrev_b32_e32 v5, 16, v5
	v_and_or_b32 v0, 0xffe, v6, v0
	v_cndmask_b32_e64 v4, 0, 1, vcc_lo
	v_sub_nc_u32_e32 v6, 0x3f1, v9
	v_add_nc_u32_e32 v9, 0xfffffc10, v9
	v_and_or_b32 v4, 0xffe, v8, v4
	v_med3_i32 v8, v10, 0, 13
	v_or_b32_e32 v10, 0x1000, v0
	v_med3_i32 v6, v6, 0, 13
	v_or_b32_e32 v11, 0x1000, v4
	v_lshrrev_b32_e32 v16, v8, v10
	v_lshrrev_b32_e32 v19, v6, v11
	v_lshlrev_b32_e32 v8, v8, v16
	v_lshlrev_b32_e32 v6, v6, v19
	v_cmp_ne_u32_e32 vcc_lo, v8, v10
	v_lshl_or_b32 v10, v7, 12, v0
	v_cndmask_b32_e64 v8, 0, 1, vcc_lo
	v_cmp_ne_u32_e32 vcc_lo, v6, v11
	v_lshl_or_b32 v11, v9, 12, v4
	v_or_b32_e32 v8, v16, v8
	v_cndmask_b32_e64 v6, 0, 1, vcc_lo
	v_cmp_gt_i32_e32 vcc_lo, 1, v7
	v_or_b32_e32 v6, v19, v6
	v_cndmask_b32_e32 v8, v10, v8, vcc_lo
	v_cmp_gt_i32_e32 vcc_lo, 1, v9
	v_and_b32_e32 v10, 7, v8
	v_cndmask_b32_e32 v6, v11, v6, vcc_lo
	v_cmp_ne_u32_e32 vcc_lo, 0, v0
	v_lshrrev_b32_e32 v8, 2, v8
	v_cmp_eq_u32_e64 s0, 3, v10
	v_and_b32_e32 v11, 7, v6
	v_cndmask_b32_e64 v0, 0, 1, vcc_lo
	v_cmp_ne_u32_e32 vcc_lo, 0, v4
	v_lshrrev_b32_e32 v6, 2, v6
	v_cmp_lt_i32_e64 s1, 5, v11
	v_cmp_eq_u32_e64 s2, 3, v11
	v_cndmask_b32_e64 v4, 0, 1, vcc_lo
	v_cmp_lt_i32_e32 vcc_lo, 5, v10
	v_lshl_or_b32 v0, v0, 9, 0x7c00
	v_lshl_or_b32 v4, v4, 9, 0x7c00
	s_or_b32 vcc_lo, s0, vcc_lo
	v_add_co_ci_u32_e32 v8, vcc_lo, 0, v8, vcc_lo
	s_or_b32 vcc_lo, s2, s1
	v_add_co_ci_u32_e32 v6, vcc_lo, 0, v6, vcc_lo
	v_cmp_gt_i32_e32 vcc_lo, 31, v7
	v_cndmask_b32_e32 v8, 0x7c00, v8, vcc_lo
	v_cmp_gt_i32_e32 vcc_lo, 31, v9
	v_cndmask_b32_e32 v6, 0x7c00, v6, vcc_lo
	v_cmp_eq_u32_e32 vcc_lo, 0x40f, v7
	v_cndmask_b32_e32 v0, v8, v0, vcc_lo
	v_cmp_eq_u32_e32 vcc_lo, 0x40f, v9
	v_and_or_b32 v0, 0x8000, v1, v0
	v_cndmask_b32_e32 v4, v6, v4, vcc_lo
	v_and_or_b32 v4, 0x8000, v5, v4
	v_and_b32_e32 v5, 0xffff, v0
	v_add_co_u32 v0, vcc_lo, v2, s14
	v_add_co_ci_u32_e32 v1, vcc_lo, s15, v3, vcc_lo
	v_lshl_or_b32 v2, v4, 16, v5
	global_store_dword v[0:1], v2, off
	global_load_dword v4, v[14:15], off offset:1820
	ds_read2_b32 v[2:3], v18 offset0:71 offset1:169
	s_waitcnt lgkmcnt(0)
	v_lshrrev_b32_e32 v5, 16, v2
	s_waitcnt vmcnt(0)
	v_mul_f16_sdwa v6, v5, v4 dst_sel:DWORD dst_unused:UNUSED_PAD src0_sel:DWORD src1_sel:WORD_1
	v_mul_f16_sdwa v7, v2, v4 dst_sel:DWORD dst_unused:UNUSED_PAD src0_sel:DWORD src1_sel:WORD_1
	v_fmac_f16_e32 v6, v2, v4
	v_fma_f16 v2, v4, v5, -v7
	v_cvt_f32_f16_e32 v4, v6
	v_cvt_f32_f16_e32 v2, v2
	v_cvt_f64_f32_e32 v[4:5], v4
	v_cvt_f64_f32_e32 v[6:7], v2
	v_mul_f64 v[4:5], v[4:5], s[12:13]
	v_mul_f64 v[6:7], v[6:7], s[12:13]
	v_and_or_b32 v2, 0x1ff, v5, v4
	v_and_or_b32 v6, 0x1ff, v7, v6
	v_lshrrev_b32_e32 v4, 8, v5
	v_bfe_u32 v8, v5, 20, 11
	v_lshrrev_b32_e32 v9, 8, v7
	v_cmp_ne_u32_e32 vcc_lo, 0, v2
	v_bfe_u32 v10, v7, 20, 11
	v_lshrrev_b32_e32 v5, 16, v5
	v_sub_nc_u32_e32 v11, 0x3f1, v8
	v_add_nc_u32_e32 v8, 0xfffffc10, v8
	v_cndmask_b32_e64 v2, 0, 1, vcc_lo
	v_cmp_ne_u32_e32 vcc_lo, 0, v6
	v_lshrrev_b32_e32 v7, 16, v7
	v_and_or_b32 v2, 0xffe, v4, v2
	v_cndmask_b32_e64 v6, 0, 1, vcc_lo
	v_sub_nc_u32_e32 v4, 0x3f1, v10
	v_add_nc_u32_e32 v10, 0xfffffc10, v10
	v_and_or_b32 v6, 0xffe, v9, v6
	v_med3_i32 v9, v11, 0, 13
	v_or_b32_e32 v11, 0x1000, v2
	v_med3_i32 v4, v4, 0, 13
	v_or_b32_e32 v14, 0x1000, v6
	v_lshrrev_b32_e32 v15, v9, v11
	v_lshrrev_b32_e32 v16, v4, v14
	v_lshlrev_b32_e32 v9, v9, v15
	v_lshlrev_b32_e32 v4, v4, v16
	v_cmp_ne_u32_e32 vcc_lo, v9, v11
	v_lshl_or_b32 v11, v8, 12, v2
	v_cndmask_b32_e64 v9, 0, 1, vcc_lo
	v_cmp_ne_u32_e32 vcc_lo, v4, v14
	v_lshl_or_b32 v14, v10, 12, v6
	v_or_b32_e32 v9, v15, v9
	v_cndmask_b32_e64 v4, 0, 1, vcc_lo
	v_cmp_gt_i32_e32 vcc_lo, 1, v8
	v_or_b32_e32 v4, v16, v4
	v_cndmask_b32_e32 v9, v11, v9, vcc_lo
	v_cmp_gt_i32_e32 vcc_lo, 1, v10
	v_and_b32_e32 v11, 7, v9
	v_cndmask_b32_e32 v4, v14, v4, vcc_lo
	v_cmp_ne_u32_e32 vcc_lo, 0, v2
	v_lshrrev_b32_e32 v9, 2, v9
	v_cmp_eq_u32_e64 s0, 3, v11
	v_and_b32_e32 v14, 7, v4
	v_cndmask_b32_e64 v2, 0, 1, vcc_lo
	v_cmp_ne_u32_e32 vcc_lo, 0, v6
	v_lshrrev_b32_e32 v4, 2, v4
	v_cmp_lt_i32_e64 s1, 5, v14
	v_cmp_eq_u32_e64 s2, 3, v14
	v_cndmask_b32_e64 v6, 0, 1, vcc_lo
	v_cmp_lt_i32_e32 vcc_lo, 5, v11
	v_lshl_or_b32 v2, v2, 9, 0x7c00
	v_lshl_or_b32 v6, v6, 9, 0x7c00
	s_or_b32 vcc_lo, s0, vcc_lo
	v_add_co_ci_u32_e32 v9, vcc_lo, 0, v9, vcc_lo
	s_or_b32 vcc_lo, s2, s1
	v_add_co_ci_u32_e32 v4, vcc_lo, 0, v4, vcc_lo
	v_cmp_gt_i32_e32 vcc_lo, 31, v8
	v_cndmask_b32_e32 v9, 0x7c00, v9, vcc_lo
	v_cmp_gt_i32_e32 vcc_lo, 31, v10
	v_cndmask_b32_e32 v4, 0x7c00, v4, vcc_lo
	v_cmp_eq_u32_e32 vcc_lo, 0x40f, v8
	v_cndmask_b32_e32 v2, v9, v2, vcc_lo
	v_cmp_eq_u32_e32 vcc_lo, 0x40f, v10
	v_and_or_b32 v2, 0x8000, v5, v2
	v_cndmask_b32_e32 v4, v4, v6, vcc_lo
	v_add_co_u32 v0, vcc_lo, v0, s14
	v_add_co_ci_u32_e32 v1, vcc_lo, s15, v1, vcc_lo
	v_and_or_b32 v4, 0x8000, v7, v4
	v_and_b32_e32 v2, 0xffff, v2
	v_lshl_or_b32 v2, v4, 16, v2
	v_lshrrev_b32_e32 v4, 16, v3
	global_store_dword v[0:1], v2, off
	global_load_dword v2, v[12:13], off offset:164
	s_waitcnt vmcnt(0)
	v_mul_f16_sdwa v5, v4, v2 dst_sel:DWORD dst_unused:UNUSED_PAD src0_sel:DWORD src1_sel:WORD_1
	v_mul_f16_sdwa v6, v3, v2 dst_sel:DWORD dst_unused:UNUSED_PAD src0_sel:DWORD src1_sel:WORD_1
	v_fmac_f16_e32 v5, v3, v2
	v_fma_f16 v2, v2, v4, -v6
	v_cvt_f32_f16_e32 v3, v5
	v_cvt_f32_f16_e32 v4, v2
	v_cvt_f64_f32_e32 v[2:3], v3
	v_cvt_f64_f32_e32 v[4:5], v4
	v_mul_f64 v[2:3], v[2:3], s[12:13]
	v_mul_f64 v[4:5], v[4:5], s[12:13]
	v_and_or_b32 v2, 0x1ff, v3, v2
	v_and_or_b32 v4, 0x1ff, v5, v4
	v_lshrrev_b32_e32 v6, 8, v3
	v_bfe_u32 v7, v3, 20, 11
	v_lshrrev_b32_e32 v8, 8, v5
	v_cmp_ne_u32_e32 vcc_lo, 0, v2
	v_bfe_u32 v9, v5, 20, 11
	v_lshrrev_b32_e32 v3, 16, v3
	v_sub_nc_u32_e32 v10, 0x3f1, v7
	v_add_nc_u32_e32 v7, 0xfffffc10, v7
	v_cndmask_b32_e64 v2, 0, 1, vcc_lo
	v_cmp_ne_u32_e32 vcc_lo, 0, v4
	v_lshrrev_b32_e32 v5, 16, v5
	v_and_or_b32 v2, 0xffe, v6, v2
	v_cndmask_b32_e64 v4, 0, 1, vcc_lo
	v_sub_nc_u32_e32 v6, 0x3f1, v9
	v_add_nc_u32_e32 v9, 0xfffffc10, v9
	v_and_or_b32 v4, 0xffe, v8, v4
	v_med3_i32 v8, v10, 0, 13
	v_or_b32_e32 v10, 0x1000, v2
	v_med3_i32 v6, v6, 0, 13
	v_or_b32_e32 v11, 0x1000, v4
	v_lshrrev_b32_e32 v14, v8, v10
	v_lshrrev_b32_e32 v15, v6, v11
	v_lshlrev_b32_e32 v8, v8, v14
	v_lshlrev_b32_e32 v6, v6, v15
	v_cmp_ne_u32_e32 vcc_lo, v8, v10
	v_lshl_or_b32 v10, v7, 12, v2
	v_cndmask_b32_e64 v8, 0, 1, vcc_lo
	v_cmp_ne_u32_e32 vcc_lo, v6, v11
	v_lshl_or_b32 v11, v9, 12, v4
	v_or_b32_e32 v8, v14, v8
	v_cndmask_b32_e64 v6, 0, 1, vcc_lo
	v_cmp_gt_i32_e32 vcc_lo, 1, v7
	v_or_b32_e32 v6, v15, v6
	v_cndmask_b32_e32 v8, v10, v8, vcc_lo
	v_cmp_gt_i32_e32 vcc_lo, 1, v9
	v_and_b32_e32 v10, 7, v8
	v_cndmask_b32_e32 v6, v11, v6, vcc_lo
	v_cmp_ne_u32_e32 vcc_lo, 0, v2
	v_lshrrev_b32_e32 v8, 2, v8
	v_cmp_eq_u32_e64 s0, 3, v10
	v_and_b32_e32 v11, 7, v6
	v_cndmask_b32_e64 v2, 0, 1, vcc_lo
	v_cmp_ne_u32_e32 vcc_lo, 0, v4
	v_lshrrev_b32_e32 v6, 2, v6
	v_cmp_lt_i32_e64 s1, 5, v11
	v_cmp_eq_u32_e64 s2, 3, v11
	v_cndmask_b32_e64 v4, 0, 1, vcc_lo
	v_cmp_lt_i32_e32 vcc_lo, 5, v10
	v_lshl_or_b32 v2, v2, 9, 0x7c00
	v_lshl_or_b32 v4, v4, 9, 0x7c00
	s_or_b32 vcc_lo, s0, vcc_lo
	v_add_co_ci_u32_e32 v8, vcc_lo, 0, v8, vcc_lo
	s_or_b32 vcc_lo, s2, s1
	v_add_co_ci_u32_e32 v6, vcc_lo, 0, v6, vcc_lo
	v_cmp_gt_i32_e32 vcc_lo, 31, v7
	v_cndmask_b32_e32 v8, 0x7c00, v8, vcc_lo
	v_cmp_gt_i32_e32 vcc_lo, 31, v9
	v_cndmask_b32_e32 v6, 0x7c00, v6, vcc_lo
	v_cmp_eq_u32_e32 vcc_lo, 0x40f, v7
	v_cndmask_b32_e32 v2, v8, v2, vcc_lo
	v_cmp_eq_u32_e32 vcc_lo, 0x40f, v9
	v_and_or_b32 v2, 0x8000, v3, v2
	v_cndmask_b32_e32 v4, v6, v4, vcc_lo
	v_add_co_u32 v0, vcc_lo, v0, s14
	v_add_co_ci_u32_e32 v1, vcc_lo, s15, v1, vcc_lo
	v_and_or_b32 v3, 0x8000, v5, v4
	v_and_b32_e32 v2, 0xffff, v2
	v_lshl_or_b32 v2, v3, 16, v2
	global_store_dword v[0:1], v2, off
	global_load_dword v4, v[12:13], off offset:556
	ds_read2_b32 v[2:3], v17 offset0:139 offset1:237
	s_waitcnt lgkmcnt(0)
	v_lshrrev_b32_e32 v5, 16, v2
	s_waitcnt vmcnt(0)
	v_mul_f16_sdwa v6, v5, v4 dst_sel:DWORD dst_unused:UNUSED_PAD src0_sel:DWORD src1_sel:WORD_1
	v_mul_f16_sdwa v7, v2, v4 dst_sel:DWORD dst_unused:UNUSED_PAD src0_sel:DWORD src1_sel:WORD_1
	v_fmac_f16_e32 v6, v2, v4
	v_fma_f16 v2, v4, v5, -v7
	v_cvt_f32_f16_e32 v4, v6
	v_cvt_f32_f16_e32 v2, v2
	v_cvt_f64_f32_e32 v[4:5], v4
	v_cvt_f64_f32_e32 v[6:7], v2
	v_mul_f64 v[4:5], v[4:5], s[12:13]
	v_mul_f64 v[6:7], v[6:7], s[12:13]
	v_and_or_b32 v2, 0x1ff, v5, v4
	v_and_or_b32 v6, 0x1ff, v7, v6
	v_lshrrev_b32_e32 v4, 8, v5
	v_bfe_u32 v8, v5, 20, 11
	v_lshrrev_b32_e32 v9, 8, v7
	v_cmp_ne_u32_e32 vcc_lo, 0, v2
	v_bfe_u32 v10, v7, 20, 11
	v_lshrrev_b32_e32 v5, 16, v5
	v_sub_nc_u32_e32 v11, 0x3f1, v8
	v_add_nc_u32_e32 v8, 0xfffffc10, v8
	v_cndmask_b32_e64 v2, 0, 1, vcc_lo
	v_cmp_ne_u32_e32 vcc_lo, 0, v6
	v_lshrrev_b32_e32 v7, 16, v7
	v_and_or_b32 v2, 0xffe, v4, v2
	v_cndmask_b32_e64 v6, 0, 1, vcc_lo
	v_sub_nc_u32_e32 v4, 0x3f1, v10
	v_add_nc_u32_e32 v10, 0xfffffc10, v10
	v_and_or_b32 v6, 0xffe, v9, v6
	v_med3_i32 v9, v11, 0, 13
	v_or_b32_e32 v11, 0x1000, v2
	v_med3_i32 v4, v4, 0, 13
	v_or_b32_e32 v14, 0x1000, v6
	v_lshrrev_b32_e32 v15, v9, v11
	v_lshrrev_b32_e32 v16, v4, v14
	v_lshlrev_b32_e32 v9, v9, v15
	v_lshlrev_b32_e32 v4, v4, v16
	v_cmp_ne_u32_e32 vcc_lo, v9, v11
	v_lshl_or_b32 v11, v8, 12, v2
	v_cndmask_b32_e64 v9, 0, 1, vcc_lo
	v_cmp_ne_u32_e32 vcc_lo, v4, v14
	v_lshl_or_b32 v14, v10, 12, v6
	v_or_b32_e32 v9, v15, v9
	v_cndmask_b32_e64 v4, 0, 1, vcc_lo
	v_cmp_gt_i32_e32 vcc_lo, 1, v8
	v_or_b32_e32 v4, v16, v4
	v_cndmask_b32_e32 v9, v11, v9, vcc_lo
	v_cmp_gt_i32_e32 vcc_lo, 1, v10
	v_and_b32_e32 v11, 7, v9
	v_cndmask_b32_e32 v4, v14, v4, vcc_lo
	v_cmp_ne_u32_e32 vcc_lo, 0, v2
	v_lshrrev_b32_e32 v9, 2, v9
	v_cmp_eq_u32_e64 s0, 3, v11
	v_and_b32_e32 v14, 7, v4
	v_cndmask_b32_e64 v2, 0, 1, vcc_lo
	v_cmp_ne_u32_e32 vcc_lo, 0, v6
	v_lshrrev_b32_e32 v4, 2, v4
	v_cmp_lt_i32_e64 s1, 5, v14
	v_cmp_eq_u32_e64 s2, 3, v14
	v_cndmask_b32_e64 v6, 0, 1, vcc_lo
	v_cmp_lt_i32_e32 vcc_lo, 5, v11
	v_lshl_or_b32 v2, v2, 9, 0x7c00
	v_lshl_or_b32 v6, v6, 9, 0x7c00
	s_or_b32 vcc_lo, s0, vcc_lo
	v_add_co_ci_u32_e32 v9, vcc_lo, 0, v9, vcc_lo
	s_or_b32 vcc_lo, s2, s1
	v_add_co_ci_u32_e32 v4, vcc_lo, 0, v4, vcc_lo
	v_cmp_gt_i32_e32 vcc_lo, 31, v8
	v_cndmask_b32_e32 v9, 0x7c00, v9, vcc_lo
	v_cmp_gt_i32_e32 vcc_lo, 31, v10
	v_cndmask_b32_e32 v4, 0x7c00, v4, vcc_lo
	v_cmp_eq_u32_e32 vcc_lo, 0x40f, v8
	v_cndmask_b32_e32 v2, v9, v2, vcc_lo
	v_cmp_eq_u32_e32 vcc_lo, 0x40f, v10
	v_and_or_b32 v2, 0x8000, v5, v2
	v_cndmask_b32_e32 v4, v4, v6, vcc_lo
	v_add_co_u32 v0, vcc_lo, v0, s14
	v_add_co_ci_u32_e32 v1, vcc_lo, s15, v1, vcc_lo
	v_and_or_b32 v4, 0x8000, v7, v4
	v_and_b32_e32 v2, 0xffff, v2
	v_lshl_or_b32 v2, v4, 16, v2
	v_lshrrev_b32_e32 v4, 16, v3
	global_store_dword v[0:1], v2, off
	global_load_dword v2, v[12:13], off offset:948
	s_waitcnt vmcnt(0)
	v_mul_f16_sdwa v5, v4, v2 dst_sel:DWORD dst_unused:UNUSED_PAD src0_sel:DWORD src1_sel:WORD_1
	v_mul_f16_sdwa v6, v3, v2 dst_sel:DWORD dst_unused:UNUSED_PAD src0_sel:DWORD src1_sel:WORD_1
	v_fmac_f16_e32 v5, v3, v2
	v_fma_f16 v2, v2, v4, -v6
	v_cvt_f32_f16_e32 v3, v5
	v_cvt_f32_f16_e32 v4, v2
	v_cvt_f64_f32_e32 v[2:3], v3
	v_cvt_f64_f32_e32 v[4:5], v4
	v_mul_f64 v[2:3], v[2:3], s[12:13]
	v_mul_f64 v[4:5], v[4:5], s[12:13]
	v_and_or_b32 v2, 0x1ff, v3, v2
	v_and_or_b32 v4, 0x1ff, v5, v4
	v_lshrrev_b32_e32 v6, 8, v3
	v_bfe_u32 v7, v3, 20, 11
	v_lshrrev_b32_e32 v8, 8, v5
	v_cmp_ne_u32_e32 vcc_lo, 0, v2
	v_bfe_u32 v9, v5, 20, 11
	v_lshrrev_b32_e32 v3, 16, v3
	v_sub_nc_u32_e32 v10, 0x3f1, v7
	v_add_nc_u32_e32 v7, 0xfffffc10, v7
	v_cndmask_b32_e64 v2, 0, 1, vcc_lo
	v_cmp_ne_u32_e32 vcc_lo, 0, v4
	v_lshrrev_b32_e32 v5, 16, v5
	v_and_or_b32 v2, 0xffe, v6, v2
	v_cndmask_b32_e64 v4, 0, 1, vcc_lo
	v_sub_nc_u32_e32 v6, 0x3f1, v9
	v_add_nc_u32_e32 v9, 0xfffffc10, v9
	v_and_or_b32 v4, 0xffe, v8, v4
	v_med3_i32 v8, v10, 0, 13
	v_or_b32_e32 v10, 0x1000, v2
	v_med3_i32 v6, v6, 0, 13
	v_or_b32_e32 v11, 0x1000, v4
	v_lshrrev_b32_e32 v14, v8, v10
	v_lshrrev_b32_e32 v15, v6, v11
	v_lshlrev_b32_e32 v8, v8, v14
	v_lshlrev_b32_e32 v6, v6, v15
	v_cmp_ne_u32_e32 vcc_lo, v8, v10
	v_lshl_or_b32 v10, v7, 12, v2
	v_cndmask_b32_e64 v8, 0, 1, vcc_lo
	v_cmp_ne_u32_e32 vcc_lo, v6, v11
	v_lshl_or_b32 v11, v9, 12, v4
	v_or_b32_e32 v8, v14, v8
	v_cndmask_b32_e64 v6, 0, 1, vcc_lo
	v_cmp_gt_i32_e32 vcc_lo, 1, v7
	v_or_b32_e32 v6, v15, v6
	v_cndmask_b32_e32 v8, v10, v8, vcc_lo
	v_cmp_gt_i32_e32 vcc_lo, 1, v9
	v_and_b32_e32 v10, 7, v8
	v_cndmask_b32_e32 v6, v11, v6, vcc_lo
	v_cmp_ne_u32_e32 vcc_lo, 0, v2
	v_lshrrev_b32_e32 v8, 2, v8
	v_cmp_eq_u32_e64 s0, 3, v10
	v_and_b32_e32 v11, 7, v6
	v_cndmask_b32_e64 v2, 0, 1, vcc_lo
	v_cmp_ne_u32_e32 vcc_lo, 0, v4
	v_lshrrev_b32_e32 v6, 2, v6
	v_cmp_lt_i32_e64 s1, 5, v11
	v_cmp_eq_u32_e64 s2, 3, v11
	v_cndmask_b32_e64 v4, 0, 1, vcc_lo
	v_cmp_lt_i32_e32 vcc_lo, 5, v10
	v_lshl_or_b32 v2, v2, 9, 0x7c00
	v_lshl_or_b32 v4, v4, 9, 0x7c00
	s_or_b32 vcc_lo, s0, vcc_lo
	v_add_co_ci_u32_e32 v8, vcc_lo, 0, v8, vcc_lo
	s_or_b32 vcc_lo, s2, s1
	v_add_co_ci_u32_e32 v6, vcc_lo, 0, v6, vcc_lo
	v_cmp_gt_i32_e32 vcc_lo, 31, v7
	v_cndmask_b32_e32 v8, 0x7c00, v8, vcc_lo
	v_cmp_gt_i32_e32 vcc_lo, 31, v9
	v_cndmask_b32_e32 v6, 0x7c00, v6, vcc_lo
	v_cmp_eq_u32_e32 vcc_lo, 0x40f, v7
	v_cndmask_b32_e32 v2, v8, v2, vcc_lo
	v_cmp_eq_u32_e32 vcc_lo, 0x40f, v9
	v_and_or_b32 v2, 0x8000, v3, v2
	v_cndmask_b32_e32 v4, v6, v4, vcc_lo
	v_add_co_u32 v0, vcc_lo, v0, s14
	v_add_co_ci_u32_e32 v1, vcc_lo, s15, v1, vcc_lo
	v_and_or_b32 v3, 0x8000, v5, v4
	v_and_b32_e32 v2, 0xffff, v2
	v_lshl_or_b32 v2, v3, 16, v2
	ds_read_b32 v3, v39 offset:3388
	global_store_dword v[0:1], v2, off
	global_load_dword v2, v[12:13], off offset:1340
	s_waitcnt lgkmcnt(0)
	v_lshrrev_b32_e32 v4, 16, v3
	s_waitcnt vmcnt(0)
	v_mul_f16_sdwa v5, v4, v2 dst_sel:DWORD dst_unused:UNUSED_PAD src0_sel:DWORD src1_sel:WORD_1
	v_mul_f16_sdwa v6, v3, v2 dst_sel:DWORD dst_unused:UNUSED_PAD src0_sel:DWORD src1_sel:WORD_1
	v_fmac_f16_e32 v5, v3, v2
	v_fma_f16 v2, v2, v4, -v6
	v_cvt_f32_f16_e32 v3, v5
	v_cvt_f32_f16_e32 v4, v2
	v_cvt_f64_f32_e32 v[2:3], v3
	v_cvt_f64_f32_e32 v[4:5], v4
	v_mul_f64 v[2:3], v[2:3], s[12:13]
	v_mul_f64 v[4:5], v[4:5], s[12:13]
	v_and_or_b32 v2, 0x1ff, v3, v2
	v_and_or_b32 v4, 0x1ff, v5, v4
	v_lshrrev_b32_e32 v6, 8, v3
	v_bfe_u32 v7, v3, 20, 11
	v_lshrrev_b32_e32 v8, 8, v5
	v_cmp_ne_u32_e32 vcc_lo, 0, v2
	v_bfe_u32 v9, v5, 20, 11
	v_lshrrev_b32_e32 v3, 16, v3
	v_sub_nc_u32_e32 v10, 0x3f1, v7
	v_add_nc_u32_e32 v7, 0xfffffc10, v7
	v_cndmask_b32_e64 v2, 0, 1, vcc_lo
	v_cmp_ne_u32_e32 vcc_lo, 0, v4
	v_lshrrev_b32_e32 v5, 16, v5
	v_and_or_b32 v2, 0xffe, v6, v2
	v_cndmask_b32_e64 v4, 0, 1, vcc_lo
	v_sub_nc_u32_e32 v6, 0x3f1, v9
	v_add_nc_u32_e32 v9, 0xfffffc10, v9
	v_and_or_b32 v4, 0xffe, v8, v4
	v_med3_i32 v8, v10, 0, 13
	v_or_b32_e32 v10, 0x1000, v2
	v_med3_i32 v6, v6, 0, 13
	v_or_b32_e32 v11, 0x1000, v4
	v_lshrrev_b32_e32 v12, v8, v10
	v_lshrrev_b32_e32 v13, v6, v11
	v_lshlrev_b32_e32 v8, v8, v12
	v_lshlrev_b32_e32 v6, v6, v13
	v_cmp_ne_u32_e32 vcc_lo, v8, v10
	v_lshl_or_b32 v10, v7, 12, v2
	v_cndmask_b32_e64 v8, 0, 1, vcc_lo
	v_cmp_ne_u32_e32 vcc_lo, v6, v11
	v_lshl_or_b32 v11, v9, 12, v4
	v_or_b32_e32 v8, v12, v8
	v_cndmask_b32_e64 v6, 0, 1, vcc_lo
	v_cmp_gt_i32_e32 vcc_lo, 1, v7
	v_or_b32_e32 v6, v13, v6
	v_cndmask_b32_e32 v8, v10, v8, vcc_lo
	v_cmp_gt_i32_e32 vcc_lo, 1, v9
	v_and_b32_e32 v10, 7, v8
	v_cndmask_b32_e32 v6, v11, v6, vcc_lo
	v_cmp_ne_u32_e32 vcc_lo, 0, v2
	v_lshrrev_b32_e32 v8, 2, v8
	v_cmp_eq_u32_e64 s0, 3, v10
	v_and_b32_e32 v11, 7, v6
	v_cndmask_b32_e64 v2, 0, 1, vcc_lo
	v_cmp_ne_u32_e32 vcc_lo, 0, v4
	v_lshrrev_b32_e32 v6, 2, v6
	v_cmp_lt_i32_e64 s1, 5, v11
	v_cmp_eq_u32_e64 s2, 3, v11
	v_cndmask_b32_e64 v4, 0, 1, vcc_lo
	v_cmp_lt_i32_e32 vcc_lo, 5, v10
	v_lshl_or_b32 v2, v2, 9, 0x7c00
	v_lshl_or_b32 v4, v4, 9, 0x7c00
	s_or_b32 vcc_lo, s0, vcc_lo
	v_add_co_ci_u32_e32 v8, vcc_lo, 0, v8, vcc_lo
	s_or_b32 vcc_lo, s2, s1
	v_add_co_ci_u32_e32 v6, vcc_lo, 0, v6, vcc_lo
	v_cmp_gt_i32_e32 vcc_lo, 31, v7
	v_cndmask_b32_e32 v8, 0x7c00, v8, vcc_lo
	v_cmp_gt_i32_e32 vcc_lo, 31, v9
	v_cndmask_b32_e32 v6, 0x7c00, v6, vcc_lo
	v_cmp_eq_u32_e32 vcc_lo, 0x40f, v7
	v_cndmask_b32_e32 v2, v8, v2, vcc_lo
	v_cmp_eq_u32_e32 vcc_lo, 0x40f, v9
	v_and_or_b32 v2, 0x8000, v3, v2
	v_cndmask_b32_e32 v4, v6, v4, vcc_lo
	v_add_co_u32 v0, vcc_lo, v0, s14
	v_add_co_ci_u32_e32 v1, vcc_lo, s15, v1, vcc_lo
	v_and_or_b32 v3, 0x8000, v5, v4
	v_and_b32_e32 v2, 0xffff, v2
	v_lshl_or_b32 v2, v3, 16, v2
	global_store_dword v[0:1], v2, off
.LBB0_15:
	s_endpgm
	.section	.rodata,"a",@progbits
	.p2align	6, 0x0
	.amdhsa_kernel bluestein_single_fwd_len882_dim1_half_op_CI_CI
		.amdhsa_group_segment_fixed_size 3528
		.amdhsa_private_segment_fixed_size 0
		.amdhsa_kernarg_size 104
		.amdhsa_user_sgpr_count 6
		.amdhsa_user_sgpr_private_segment_buffer 1
		.amdhsa_user_sgpr_dispatch_ptr 0
		.amdhsa_user_sgpr_queue_ptr 0
		.amdhsa_user_sgpr_kernarg_segment_ptr 1
		.amdhsa_user_sgpr_dispatch_id 0
		.amdhsa_user_sgpr_flat_scratch_init 0
		.amdhsa_user_sgpr_private_segment_size 0
		.amdhsa_wavefront_size32 1
		.amdhsa_uses_dynamic_stack 0
		.amdhsa_system_sgpr_private_segment_wavefront_offset 0
		.amdhsa_system_sgpr_workgroup_id_x 1
		.amdhsa_system_sgpr_workgroup_id_y 0
		.amdhsa_system_sgpr_workgroup_id_z 0
		.amdhsa_system_sgpr_workgroup_info 0
		.amdhsa_system_vgpr_workitem_id 0
		.amdhsa_next_free_vgpr 105
		.amdhsa_next_free_sgpr 16
		.amdhsa_reserve_vcc 1
		.amdhsa_reserve_flat_scratch 0
		.amdhsa_float_round_mode_32 0
		.amdhsa_float_round_mode_16_64 0
		.amdhsa_float_denorm_mode_32 3
		.amdhsa_float_denorm_mode_16_64 3
		.amdhsa_dx10_clamp 1
		.amdhsa_ieee_mode 1
		.amdhsa_fp16_overflow 0
		.amdhsa_workgroup_processor_mode 1
		.amdhsa_memory_ordered 1
		.amdhsa_forward_progress 0
		.amdhsa_shared_vgpr_count 0
		.amdhsa_exception_fp_ieee_invalid_op 0
		.amdhsa_exception_fp_denorm_src 0
		.amdhsa_exception_fp_ieee_div_zero 0
		.amdhsa_exception_fp_ieee_overflow 0
		.amdhsa_exception_fp_ieee_underflow 0
		.amdhsa_exception_fp_ieee_inexact 0
		.amdhsa_exception_int_div_zero 0
	.end_amdhsa_kernel
	.text
.Lfunc_end0:
	.size	bluestein_single_fwd_len882_dim1_half_op_CI_CI, .Lfunc_end0-bluestein_single_fwd_len882_dim1_half_op_CI_CI
                                        ; -- End function
	.section	.AMDGPU.csdata,"",@progbits
; Kernel info:
; codeLenInByte = 25464
; NumSgprs: 18
; NumVgprs: 105
; ScratchSize: 0
; MemoryBound: 0
; FloatMode: 240
; IeeeMode: 1
; LDSByteSize: 3528 bytes/workgroup (compile time only)
; SGPRBlocks: 2
; VGPRBlocks: 13
; NumSGPRsForWavesPerEU: 18
; NumVGPRsForWavesPerEU: 105
; Occupancy: 9
; WaveLimiterHint : 1
; COMPUTE_PGM_RSRC2:SCRATCH_EN: 0
; COMPUTE_PGM_RSRC2:USER_SGPR: 6
; COMPUTE_PGM_RSRC2:TRAP_HANDLER: 0
; COMPUTE_PGM_RSRC2:TGID_X_EN: 1
; COMPUTE_PGM_RSRC2:TGID_Y_EN: 0
; COMPUTE_PGM_RSRC2:TGID_Z_EN: 0
; COMPUTE_PGM_RSRC2:TIDIG_COMP_CNT: 0
	.text
	.p2alignl 6, 3214868480
	.fill 48, 4, 3214868480
	.type	__hip_cuid_c91bf9f232ac052c,@object ; @__hip_cuid_c91bf9f232ac052c
	.section	.bss,"aw",@nobits
	.globl	__hip_cuid_c91bf9f232ac052c
__hip_cuid_c91bf9f232ac052c:
	.byte	0                               ; 0x0
	.size	__hip_cuid_c91bf9f232ac052c, 1

	.ident	"AMD clang version 19.0.0git (https://github.com/RadeonOpenCompute/llvm-project roc-6.4.0 25133 c7fe45cf4b819c5991fe208aaa96edf142730f1d)"
	.section	".note.GNU-stack","",@progbits
	.addrsig
	.addrsig_sym __hip_cuid_c91bf9f232ac052c
	.amdgpu_metadata
---
amdhsa.kernels:
  - .args:
      - .actual_access:  read_only
        .address_space:  global
        .offset:         0
        .size:           8
        .value_kind:     global_buffer
      - .actual_access:  read_only
        .address_space:  global
        .offset:         8
        .size:           8
        .value_kind:     global_buffer
      - .actual_access:  read_only
        .address_space:  global
        .offset:         16
        .size:           8
        .value_kind:     global_buffer
      - .actual_access:  read_only
        .address_space:  global
        .offset:         24
        .size:           8
        .value_kind:     global_buffer
      - .actual_access:  read_only
        .address_space:  global
        .offset:         32
        .size:           8
        .value_kind:     global_buffer
      - .offset:         40
        .size:           8
        .value_kind:     by_value
      - .address_space:  global
        .offset:         48
        .size:           8
        .value_kind:     global_buffer
      - .address_space:  global
        .offset:         56
        .size:           8
        .value_kind:     global_buffer
      - .address_space:  global
        .offset:         64
        .size:           8
        .value_kind:     global_buffer
      - .address_space:  global
        .offset:         72
        .size:           8
        .value_kind:     global_buffer
      - .offset:         80
        .size:           4
        .value_kind:     by_value
      - .address_space:  global
        .offset:         88
        .size:           8
        .value_kind:     global_buffer
      - .address_space:  global
        .offset:         96
        .size:           8
        .value_kind:     global_buffer
    .group_segment_fixed_size: 3528
    .kernarg_segment_align: 8
    .kernarg_segment_size: 104
    .language:       OpenCL C
    .language_version:
      - 2
      - 0
    .max_flat_workgroup_size: 63
    .name:           bluestein_single_fwd_len882_dim1_half_op_CI_CI
    .private_segment_fixed_size: 0
    .sgpr_count:     18
    .sgpr_spill_count: 0
    .symbol:         bluestein_single_fwd_len882_dim1_half_op_CI_CI.kd
    .uniform_work_group_size: 1
    .uses_dynamic_stack: false
    .vgpr_count:     105
    .vgpr_spill_count: 0
    .wavefront_size: 32
    .workgroup_processor_mode: 1
amdhsa.target:   amdgcn-amd-amdhsa--gfx1030
amdhsa.version:
  - 1
  - 2
...

	.end_amdgpu_metadata
